;; amdgpu-corpus repo=ROCm/rocFFT kind=compiled arch=gfx906 opt=O3
	.text
	.amdgcn_target "amdgcn-amd-amdhsa--gfx906"
	.amdhsa_code_object_version 6
	.protected	bluestein_single_fwd_len867_dim1_dp_op_CI_CI ; -- Begin function bluestein_single_fwd_len867_dim1_dp_op_CI_CI
	.globl	bluestein_single_fwd_len867_dim1_dp_op_CI_CI
	.p2align	8
	.type	bluestein_single_fwd_len867_dim1_dp_op_CI_CI,@function
bluestein_single_fwd_len867_dim1_dp_op_CI_CI: ; @bluestein_single_fwd_len867_dim1_dp_op_CI_CI
; %bb.0:
	s_load_dwordx4 s[12:15], s[4:5], 0x28
	s_mov_b64 s[66:67], s[2:3]
	v_mul_u32_u24_e32 v1, 0x506, v0
	s_mov_b64 s[64:65], s[0:1]
	v_add_u32_sdwa v253, s6, v1 dst_sel:DWORD dst_unused:UNUSED_PAD src0_sel:DWORD src1_sel:WORD_1
	v_mov_b32_e32 v254, 0
	s_add_u32 s64, s64, s7
	s_waitcnt lgkmcnt(0)
	v_cmp_gt_u64_e32 vcc, s[12:13], v[253:254]
	s_addc_u32 s65, s65, 0
	s_and_saveexec_b64 s[0:1], vcc
	s_cbranch_execz .LBB0_10
; %bb.1:
	s_load_dwordx4 s[8:11], s[4:5], 0x0
	s_load_dwordx4 s[16:19], s[4:5], 0x18
	s_load_dwordx2 s[12:13], s[4:5], 0x38
	v_mov_b32_e32 v2, 51
	v_mul_lo_u16_sdwa v1, v1, v2 dst_sel:DWORD dst_unused:UNUSED_PAD src0_sel:WORD_1 src1_sel:DWORD
	v_sub_u16_e32 v250, v0, v1
	s_waitcnt lgkmcnt(0)
	s_load_dwordx4 s[4:7], s[18:19], 0x0
	s_load_dwordx4 s[0:3], s[16:17], 0x0
	v_lshlrev_b32_e32 v249, 4, v250
	global_load_dwordx4 v[10:13], v249, s[8:9]
	s_mov_b32 s34, 0x5d8e7cdc
	s_mov_b32 s44, 0x2a9d6da3
	s_waitcnt lgkmcnt(0)
	v_mad_u64_u32 v[0:1], s[16:17], s2, v253, 0
	s_mov_b32 s50, 0x7c9e640b
	s_mov_b32 s42, 0xeb564b22
	v_mad_u64_u32 v[1:2], s[2:3], s3, v253, v[1:2]
	v_mad_u64_u32 v[2:3], s[2:3], s0, v250, 0
	v_lshlrev_b64 v[0:1], 4, v[0:1]
	s_mov_b32 s18, 0x923c349f
	v_mad_u64_u32 v[3:4], s[2:3], s1, v250, v[3:4]
	v_add_co_u32_e32 v4, vcc, s14, v0
	v_mov_b32_e32 v0, s15
	v_addc_co_u32_e32 v5, vcc, v0, v1, vcc
	v_lshlrev_b64 v[0:1], 4, v[2:3]
	v_add_co_u32_e64 v224, s[2:3], s8, v249
	v_add_co_u32_e32 v8, vcc, v4, v0
	v_addc_co_u32_e32 v9, vcc, v5, v1, vcc
	global_load_dwordx4 v[0:3], v[8:9], off
	v_mov_b32_e32 v4, s9
	v_addc_co_u32_e64 v64, vcc, 0, v4, s[2:3]
	s_mulk_i32 s1, 0x330
	s_mul_hi_u32 s14, s0, 0x330
	s_add_i32 s1, s14, s1
	s_mulk_i32 s0, 0x330
	v_add_co_u32_e32 v8, vcc, s0, v8
	s_movk_i32 s14, 0x2000
	s_mov_b32 s26, 0x6c9a05f6
	s_mov_b32 s28, 0x4363dd80
	;; [unrolled: 1-line block ×39, first 2 shown]
	s_movk_i32 s33, 0xf1
	s_waitcnt vmcnt(0)
	v_mul_f64 v[4:5], v[2:3], v[12:13]
	v_fma_f64 v[4:5], v[0:1], v[10:11], v[4:5]
	v_mul_f64 v[0:1], v[0:1], v[12:13]
	buffer_store_dword v10, off, s[64:67], 0 offset:80 ; 4-byte Folded Spill
	s_nop 0
	buffer_store_dword v11, off, s[64:67], 0 offset:84 ; 4-byte Folded Spill
	buffer_store_dword v12, off, s[64:67], 0 offset:88 ; 4-byte Folded Spill
	buffer_store_dword v13, off, s[64:67], 0 offset:92 ; 4-byte Folded Spill
	v_fma_f64 v[6:7], v[2:3], v[10:11], -v[0:1]
	v_mov_b32_e32 v0, s1
	v_addc_co_u32_e32 v9, vcc, v9, v0, vcc
	ds_write_b128 v249, v[4:7]
	global_load_dwordx4 v[0:3], v[8:9], off
	global_load_dwordx4 v[10:13], v249, s[8:9] offset:816
	v_add_co_u32_e32 v8, vcc, s0, v8
	s_waitcnt vmcnt(0)
	v_mul_f64 v[4:5], v[2:3], v[12:13]
	v_fma_f64 v[4:5], v[0:1], v[10:11], v[4:5]
	v_mul_f64 v[0:1], v[0:1], v[12:13]
	buffer_store_dword v10, off, s[64:67], 0 offset:64 ; 4-byte Folded Spill
	s_nop 0
	buffer_store_dword v11, off, s[64:67], 0 offset:68 ; 4-byte Folded Spill
	buffer_store_dword v12, off, s[64:67], 0 offset:72 ; 4-byte Folded Spill
	;; [unrolled: 1-line block ×3, first 2 shown]
	v_fma_f64 v[6:7], v[2:3], v[10:11], -v[0:1]
	v_mov_b32_e32 v0, s1
	v_addc_co_u32_e32 v9, vcc, v9, v0, vcc
	ds_write_b128 v249, v[4:7] offset:816
	global_load_dwordx4 v[0:3], v[8:9], off
	global_load_dwordx4 v[10:13], v249, s[8:9] offset:1632
	v_add_co_u32_e32 v8, vcc, s0, v8
	s_waitcnt vmcnt(0)
	v_mul_f64 v[4:5], v[2:3], v[12:13]
	v_fma_f64 v[4:5], v[0:1], v[10:11], v[4:5]
	v_mul_f64 v[0:1], v[0:1], v[12:13]
	buffer_store_dword v10, off, s[64:67], 0 offset:48 ; 4-byte Folded Spill
	s_nop 0
	buffer_store_dword v11, off, s[64:67], 0 offset:52 ; 4-byte Folded Spill
	buffer_store_dword v12, off, s[64:67], 0 offset:56 ; 4-byte Folded Spill
	;; [unrolled: 1-line block ×3, first 2 shown]
	v_fma_f64 v[6:7], v[2:3], v[10:11], -v[0:1]
	v_mov_b32_e32 v0, s1
	v_addc_co_u32_e32 v9, vcc, v9, v0, vcc
	ds_write_b128 v249, v[4:7] offset:1632
	global_load_dwordx4 v[0:3], v[8:9], off
	global_load_dwordx4 v[10:13], v249, s[8:9] offset:2448
	s_waitcnt vmcnt(0)
	v_mul_f64 v[4:5], v[2:3], v[12:13]
	v_fma_f64 v[4:5], v[0:1], v[10:11], v[4:5]
	v_mul_f64 v[0:1], v[0:1], v[12:13]
	buffer_store_dword v10, off, s[64:67], 0 offset:32 ; 4-byte Folded Spill
	s_nop 0
	buffer_store_dword v11, off, s[64:67], 0 offset:36 ; 4-byte Folded Spill
	buffer_store_dword v12, off, s[64:67], 0 offset:40 ; 4-byte Folded Spill
	;; [unrolled: 1-line block ×3, first 2 shown]
	v_fma_f64 v[6:7], v[2:3], v[10:11], -v[0:1]
	v_mov_b32_e32 v0, s1
	ds_write_b128 v249, v[4:7] offset:2448
	v_add_co_u32_e32 v4, vcc, s0, v8
	v_addc_co_u32_e32 v5, vcc, v9, v0, vcc
	global_load_dwordx4 v[0:3], v[4:5], off
	global_load_dwordx4 v[8:11], v249, s[8:9] offset:3264
	s_waitcnt vmcnt(0)
	v_mul_f64 v[6:7], v[2:3], v[10:11]
	v_fma_f64 v[24:25], v[0:1], v[8:9], v[6:7]
	v_mul_f64 v[0:1], v[0:1], v[10:11]
	buffer_store_dword v8, off, s[64:67], 0 offset:16 ; 4-byte Folded Spill
	s_nop 0
	buffer_store_dword v9, off, s[64:67], 0 offset:20 ; 4-byte Folded Spill
	buffer_store_dword v10, off, s[64:67], 0 offset:24 ; 4-byte Folded Spill
	;; [unrolled: 1-line block ×3, first 2 shown]
	v_fma_f64 v[26:27], v[2:3], v[8:9], -v[0:1]
	v_add_co_u32_e32 v0, vcc, s0, v4
	v_mov_b32_e32 v1, s1
	v_addc_co_u32_e32 v1, vcc, v5, v1, vcc
	ds_write_b128 v249, v[24:27] offset:3264
	global_load_dwordx4 v[24:27], v[0:1], off
	global_load_dwordx4 v[4:7], v249, s[8:9] offset:4080
	v_add_co_u32_e32 v0, vcc, s0, v0
	s_movk_i32 s8, 0x1000
	s_waitcnt vmcnt(0)
	v_mul_f64 v[2:3], v[26:27], v[6:7]
	v_fma_f64 v[28:29], v[24:25], v[4:5], v[2:3]
	v_mul_f64 v[2:3], v[24:25], v[6:7]
	buffer_store_dword v4, off, s[64:67], 0 ; 4-byte Folded Spill
	s_nop 0
	buffer_store_dword v5, off, s[64:67], 0 offset:4 ; 4-byte Folded Spill
	buffer_store_dword v6, off, s[64:67], 0 offset:8 ; 4-byte Folded Spill
	;; [unrolled: 1-line block ×3, first 2 shown]
	v_fma_f64 v[30:31], v[26:27], v[4:5], -v[2:3]
	v_mov_b32_e32 v2, s1
	v_addc_co_u32_e32 v1, vcc, v1, v2, vcc
	v_add_co_u32_e32 v2, vcc, s8, v224
	v_addc_co_u32_e32 v3, vcc, 0, v64, vcc
	ds_write_b128 v249, v[28:31] offset:4080
	global_load_dwordx4 v[28:31], v[0:1], off
	global_load_dwordx4 v[6:9], v[2:3], off offset:800
	v_add_co_u32_e32 v0, vcc, s0, v0
	s_waitcnt vmcnt(0)
	v_mul_f64 v[4:5], v[30:31], v[8:9]
	v_fma_f64 v[32:33], v[28:29], v[6:7], v[4:5]
	v_mul_f64 v[4:5], v[28:29], v[8:9]
	buffer_store_dword v6, off, s[64:67], 0 offset:96 ; 4-byte Folded Spill
	s_nop 0
	buffer_store_dword v7, off, s[64:67], 0 offset:100 ; 4-byte Folded Spill
	buffer_store_dword v8, off, s[64:67], 0 offset:104 ; 4-byte Folded Spill
	buffer_store_dword v9, off, s[64:67], 0 offset:108 ; 4-byte Folded Spill
	v_fma_f64 v[34:35], v[30:31], v[6:7], -v[4:5]
	v_mov_b32_e32 v4, s1
	v_addc_co_u32_e32 v1, vcc, v1, v4, vcc
	ds_write_b128 v249, v[32:35] offset:4896
	global_load_dwordx4 v[32:35], v[0:1], off
	global_load_dwordx4 v[6:9], v[2:3], off offset:1616
	v_add_co_u32_e32 v0, vcc, s0, v0
	s_waitcnt vmcnt(0)
	v_mul_f64 v[4:5], v[34:35], v[8:9]
	v_fma_f64 v[36:37], v[32:33], v[6:7], v[4:5]
	v_mul_f64 v[4:5], v[32:33], v[8:9]
	buffer_store_dword v6, off, s[64:67], 0 offset:112 ; 4-byte Folded Spill
	s_nop 0
	buffer_store_dword v7, off, s[64:67], 0 offset:116 ; 4-byte Folded Spill
	buffer_store_dword v8, off, s[64:67], 0 offset:120 ; 4-byte Folded Spill
	buffer_store_dword v9, off, s[64:67], 0 offset:124 ; 4-byte Folded Spill
	v_fma_f64 v[38:39], v[34:35], v[6:7], -v[4:5]
	v_mov_b32_e32 v4, s1
	;; [unrolled: 16-line block ×5, first 2 shown]
	v_addc_co_u32_e32 v1, vcc, v1, v2, vcc
	v_add_co_u32_e32 v2, vcc, s14, v224
	v_addc_co_u32_e32 v3, vcc, 0, v64, vcc
	ds_write_b128 v249, v[48:51] offset:8160
	global_load_dwordx4 v[48:51], v[0:1], off
	global_load_dwordx4 v[6:9], v[2:3], off offset:784
	v_add_co_u32_e32 v0, vcc, s0, v0
	s_mov_b32 s14, 0x2b2883cd
	s_mov_b32 s15, 0x3fdc86fa
	s_waitcnt vmcnt(0)
	v_mul_f64 v[4:5], v[50:51], v[8:9]
	v_fma_f64 v[52:53], v[48:49], v[6:7], v[4:5]
	v_mul_f64 v[4:5], v[48:49], v[8:9]
	buffer_store_dword v6, off, s[64:67], 0 offset:176 ; 4-byte Folded Spill
	s_nop 0
	buffer_store_dword v7, off, s[64:67], 0 offset:180 ; 4-byte Folded Spill
	buffer_store_dword v8, off, s[64:67], 0 offset:184 ; 4-byte Folded Spill
	buffer_store_dword v9, off, s[64:67], 0 offset:188 ; 4-byte Folded Spill
	v_fma_f64 v[54:55], v[50:51], v[6:7], -v[4:5]
	v_mov_b32_e32 v4, s1
	v_addc_co_u32_e32 v1, vcc, v1, v4, vcc
	ds_write_b128 v249, v[52:55] offset:8976
	global_load_dwordx4 v[52:55], v[0:1], off
	global_load_dwordx4 v[6:9], v[2:3], off offset:1600
	v_add_co_u32_e32 v0, vcc, s0, v0
	s_waitcnt vmcnt(0)
	v_mul_f64 v[4:5], v[54:55], v[8:9]
	v_fma_f64 v[56:57], v[52:53], v[6:7], v[4:5]
	v_mul_f64 v[4:5], v[52:53], v[8:9]
	buffer_store_dword v6, off, s[64:67], 0 offset:192 ; 4-byte Folded Spill
	s_nop 0
	buffer_store_dword v7, off, s[64:67], 0 offset:196 ; 4-byte Folded Spill
	buffer_store_dword v8, off, s[64:67], 0 offset:200 ; 4-byte Folded Spill
	buffer_store_dword v9, off, s[64:67], 0 offset:204 ; 4-byte Folded Spill
	v_fma_f64 v[58:59], v[54:55], v[6:7], -v[4:5]
	v_mov_b32_e32 v4, s1
	v_addc_co_u32_e32 v1, vcc, v1, v4, vcc
	ds_write_b128 v249, v[56:59] offset:9792
	global_load_dwordx4 v[56:59], v[0:1], off
	global_load_dwordx4 v[6:9], v[2:3], off offset:2416
	v_add_co_u32_e32 v0, vcc, s0, v0
	;; [unrolled: 16-line block ×4, first 2 shown]
	s_movk_i32 s0, 0x3000
	s_waitcnt vmcnt(0)
	v_mul_f64 v[2:3], v[67:68], v[6:7]
	v_fma_f64 v[69:70], v[65:66], v[4:5], v[2:3]
	v_mul_f64 v[2:3], v[65:66], v[6:7]
	buffer_store_dword v4, off, s[64:67], 0 offset:224 ; 4-byte Folded Spill
	s_nop 0
	buffer_store_dword v5, off, s[64:67], 0 offset:228 ; 4-byte Folded Spill
	buffer_store_dword v6, off, s[64:67], 0 offset:232 ; 4-byte Folded Spill
	;; [unrolled: 1-line block ×3, first 2 shown]
	v_fma_f64 v[71:72], v[67:68], v[4:5], -v[2:3]
	v_mov_b32_e32 v2, s1
	v_addc_co_u32_e32 v1, vcc, v1, v2, vcc
	ds_write_b128 v249, v[69:72] offset:12240
	global_load_dwordx4 v[68:71], v[0:1], off
	v_add_co_u32_e32 v0, vcc, s0, v224
	v_addc_co_u32_e32 v1, vcc, 0, v64, vcc
	global_load_dwordx4 v[2:5], v[0:1], off offset:768
	s_mov_b32 s0, 0x3259b75e
	s_mov_b32 s1, 0x3fb79ee6
	s_waitcnt vmcnt(0)
	v_mul_f64 v[0:1], v[70:71], v[4:5]
	v_fma_f64 v[72:73], v[68:69], v[2:3], v[0:1]
	v_mul_f64 v[0:1], v[68:69], v[4:5]
	buffer_store_dword v2, off, s[64:67], 0 offset:256 ; 4-byte Folded Spill
	s_nop 0
	buffer_store_dword v3, off, s[64:67], 0 offset:260 ; 4-byte Folded Spill
	buffer_store_dword v4, off, s[64:67], 0 offset:264 ; 4-byte Folded Spill
	;; [unrolled: 1-line block ×3, first 2 shown]
	v_fma_f64 v[74:75], v[70:71], v[2:3], -v[0:1]
	ds_write_b128 v249, v[72:75] offset:13056
	s_waitcnt lgkmcnt(0)
	; wave barrier
	s_waitcnt lgkmcnt(0)
	ds_read_b128 v[128:131], v249
	ds_read_b128 v[132:135], v249 offset:816
	ds_read_b128 v[120:123], v249 offset:1632
	;; [unrolled: 1-line block ×16, first 2 shown]
	s_waitcnt lgkmcnt(14)
	v_add_f64 v[0:1], v[128:129], v[132:133]
	v_add_f64 v[2:3], v[130:131], v[134:135]
	s_waitcnt lgkmcnt(0)
	; wave barrier
	s_waitcnt lgkmcnt(0)
	v_add_f64 v[6:7], v[134:135], -v[138:139]
	v_add_f64 v[4:5], v[132:133], -v[136:137]
	v_add_f64 v[0:1], v[0:1], v[120:121]
	v_add_f64 v[2:3], v[2:3], v[122:123]
	v_mul_f64 v[8:9], v[6:7], s[34:35]
	v_mul_f64 v[16:17], v[6:7], s[44:45]
	;; [unrolled: 1-line block ×4, first 2 shown]
	v_add_f64 v[0:1], v[0:1], v[112:113]
	v_add_f64 v[2:3], v[2:3], v[114:115]
	v_mul_f64 v[160:161], v[6:7], s[26:27]
	v_mul_f64 v[168:169], v[6:7], s[28:29]
	;; [unrolled: 1-line block ×6, first 2 shown]
	v_add_f64 v[0:1], v[0:1], v[104:105]
	v_add_f64 v[2:3], v[2:3], v[106:107]
	v_mul_f64 v[164:165], v[4:5], s[26:27]
	v_mul_f64 v[172:173], v[4:5], s[28:29]
	v_add_f64 v[0:1], v[0:1], v[96:97]
	v_add_f64 v[2:3], v[2:3], v[98:99]
	;; [unrolled: 1-line block ×24, first 2 shown]
	v_mul_f64 v[136:137], v[6:7], s[50:51]
	v_mul_f64 v[6:7], v[6:7], s[38:39]
	v_add_f64 v[70:71], v[2:3], v[138:139]
	v_add_f64 v[2:3], v[134:135], v[138:139]
	v_mul_f64 v[132:133], v[4:5], s[44:45]
	v_mul_f64 v[4:5], v[4:5], s[38:39]
	v_fma_f64 v[10:11], v[0:1], s[22:23], -v[8:9]
	v_fma_f64 v[8:9], v[0:1], s[22:23], v[8:9]
	v_fma_f64 v[18:19], v[0:1], s[16:17], -v[16:17]
	v_fma_f64 v[16:17], v[0:1], s[16:17], v[16:17]
	;; [unrolled: 2-line block ×8, first 2 shown]
	v_add_f64 v[6:7], v[122:123], v[126:127]
	v_add_f64 v[122:123], v[122:123], -v[126:127]
	v_fma_f64 v[14:15], v[2:3], s[22:23], v[12:13]
	v_fma_f64 v[12:13], v[2:3], s[22:23], -v[12:13]
	v_fma_f64 v[134:135], v[2:3], s[16:17], v[132:133]
	v_fma_f64 v[132:133], v[2:3], s[16:17], -v[132:133]
	;; [unrolled: 2-line block ×8, first 2 shown]
	v_add_f64 v[4:5], v[120:121], v[124:125]
	v_add_f64 v[120:121], v[120:121], -v[124:125]
	v_mul_f64 v[124:125], v[122:123], s[44:45]
	v_add_f64 v[10:11], v[128:129], v[10:11]
	v_add_f64 v[8:9], v[128:129], v[8:9]
	;; [unrolled: 1-line block ×7, first 2 shown]
	v_fma_f64 v[126:127], v[4:5], s[16:17], -v[124:125]
	v_fma_f64 v[124:125], v[4:5], s[16:17], v[124:125]
	v_add_f64 v[146:147], v[128:129], v[146:147]
	v_add_f64 v[144:145], v[128:129], v[144:145]
	;; [unrolled: 1-line block ×7, first 2 shown]
	v_mul_f64 v[126:127], v[120:121], s[44:45]
	v_add_f64 v[8:9], v[124:125], v[8:9]
	v_add_f64 v[170:171], v[128:129], v[170:171]
	;; [unrolled: 1-line block ×7, first 2 shown]
	v_fma_f64 v[124:125], v[6:7], s[16:17], -v[126:127]
	v_fma_f64 v[128:129], v[6:7], s[16:17], v[126:127]
	v_add_f64 v[132:133], v[130:131], v[132:133]
	v_add_f64 v[142:143], v[130:131], v[142:143]
	;; [unrolled: 1-line block ×7, first 2 shown]
	v_mul_f64 v[124:125], v[122:123], s[42:43]
	v_add_f64 v[14:15], v[128:129], v[14:15]
	v_add_f64 v[156:157], v[130:131], v[156:157]
	;; [unrolled: 1-line block ×7, first 2 shown]
	v_fma_f64 v[126:127], v[4:5], s[0:1], -v[124:125]
	v_fma_f64 v[124:125], v[4:5], s[0:1], v[124:125]
	v_add_f64 v[2:3], v[130:131], v[2:3]
	v_add_f64 v[18:19], v[126:127], v[18:19]
	v_mul_f64 v[126:127], v[120:121], s[42:43]
	v_add_f64 v[16:17], v[124:125], v[16:17]
	v_fma_f64 v[128:129], v[6:7], s[0:1], v[126:127]
	v_fma_f64 v[124:125], v[6:7], s[0:1], -v[126:127]
	v_mul_f64 v[126:127], v[122:123], s[26:27]
	v_add_f64 v[128:129], v[128:129], v[134:135]
	v_add_f64 v[124:125], v[124:125], v[132:133]
	v_fma_f64 v[130:131], v[4:5], s[24:25], -v[126:127]
	v_fma_f64 v[126:127], v[4:5], s[24:25], v[126:127]
	v_mul_f64 v[132:133], v[120:121], s[26:27]
	v_add_f64 v[130:131], v[130:131], v[138:139]
	v_add_f64 v[126:127], v[126:127], v[136:137]
	v_mul_f64 v[136:137], v[122:123], s[38:39]
	v_fma_f64 v[134:135], v[6:7], s[24:25], v[132:133]
	v_fma_f64 v[132:133], v[6:7], s[24:25], -v[132:133]
	v_fma_f64 v[138:139], v[4:5], s[36:37], -v[136:137]
	v_fma_f64 v[136:137], v[4:5], s[36:37], v[136:137]
	v_add_f64 v[132:133], v[132:133], v[140:141]
	v_mul_f64 v[140:141], v[120:121], s[38:39]
	v_add_f64 v[134:135], v[134:135], v[142:143]
	v_add_f64 v[138:139], v[138:139], v[146:147]
	v_add_f64 v[136:137], v[136:137], v[144:145]
	v_mul_f64 v[144:145], v[122:123], s[56:57]
	v_fma_f64 v[142:143], v[6:7], s[36:37], v[140:141]
	v_fma_f64 v[140:141], v[6:7], s[36:37], -v[140:141]
	v_fma_f64 v[146:147], v[4:5], s[30:31], -v[144:145]
	v_fma_f64 v[144:145], v[4:5], s[30:31], v[144:145]
	v_add_f64 v[140:141], v[140:141], v[148:149]
	v_mul_f64 v[148:149], v[120:121], s[56:57]
	v_add_f64 v[142:143], v[142:143], v[150:151]
	;; [unrolled: 10-line block ×3, first 2 shown]
	v_add_f64 v[154:155], v[154:155], v[162:163]
	v_add_f64 v[152:153], v[152:153], v[160:161]
	v_mul_f64 v[160:161], v[122:123], s[40:41]
	v_fma_f64 v[158:159], v[6:7], s[20:21], v[156:157]
	v_fma_f64 v[156:157], v[6:7], s[20:21], -v[156:157]
	v_mul_f64 v[122:123], v[122:123], s[46:47]
	v_fma_f64 v[162:163], v[4:5], s[14:15], -v[160:161]
	v_fma_f64 v[160:161], v[4:5], s[14:15], v[160:161]
	v_add_f64 v[156:157], v[156:157], v[164:165]
	v_mul_f64 v[164:165], v[120:121], s[40:41]
	v_mul_f64 v[120:121], v[120:121], s[46:47]
	v_add_f64 v[158:159], v[158:159], v[166:167]
	v_add_f64 v[162:163], v[162:163], v[170:171]
	;; [unrolled: 1-line block ×3, first 2 shown]
	v_fma_f64 v[168:169], v[4:5], s[22:23], -v[122:123]
	v_fma_f64 v[4:5], v[4:5], s[22:23], v[122:123]
	v_fma_f64 v[166:167], v[6:7], s[14:15], v[164:165]
	v_fma_f64 v[164:165], v[6:7], s[14:15], -v[164:165]
	v_fma_f64 v[170:171], v[6:7], s[22:23], v[120:121]
	v_add_f64 v[168:169], v[168:169], v[176:177]
	v_add_f64 v[0:1], v[4:5], v[0:1]
	v_fma_f64 v[4:5], v[6:7], s[22:23], -v[120:121]
	v_add_f64 v[6:7], v[114:115], v[118:119]
	v_add_f64 v[114:115], v[114:115], -v[118:119]
	v_add_f64 v[164:165], v[164:165], v[172:173]
	v_add_f64 v[166:167], v[166:167], v[174:175]
	;; [unrolled: 1-line block ×5, first 2 shown]
	v_add_f64 v[112:113], v[112:113], -v[116:117]
	v_mul_f64 v[116:117], v[114:115], s[50:51]
	v_fma_f64 v[118:119], v[4:5], s[14:15], -v[116:117]
	v_fma_f64 v[116:117], v[4:5], s[14:15], v[116:117]
	v_add_f64 v[10:11], v[118:119], v[10:11]
	v_mul_f64 v[118:119], v[112:113], s[50:51]
	v_add_f64 v[8:9], v[116:117], v[8:9]
	v_fma_f64 v[116:117], v[6:7], s[14:15], -v[118:119]
	v_fma_f64 v[120:121], v[6:7], s[14:15], v[118:119]
	v_add_f64 v[12:13], v[116:117], v[12:13]
	v_mul_f64 v[116:117], v[114:115], s[26:27]
	v_add_f64 v[14:15], v[120:121], v[14:15]
	;; [unrolled: 5-line block ×3, first 2 shown]
	v_fma_f64 v[120:121], v[6:7], s[24:25], v[118:119]
	v_fma_f64 v[116:117], v[6:7], s[24:25], -v[118:119]
	v_mul_f64 v[118:119], v[114:115], s[60:61]
	v_add_f64 v[120:121], v[120:121], v[128:129]
	v_add_f64 v[116:117], v[116:117], v[124:125]
	v_fma_f64 v[122:123], v[4:5], s[36:37], -v[118:119]
	v_fma_f64 v[118:119], v[4:5], s[36:37], v[118:119]
	v_mul_f64 v[124:125], v[112:113], s[60:61]
	v_add_f64 v[122:123], v[122:123], v[130:131]
	v_add_f64 v[118:119], v[118:119], v[126:127]
	v_mul_f64 v[126:127], v[114:115], s[52:53]
	v_fma_f64 v[128:129], v[6:7], s[36:37], v[124:125]
	v_fma_f64 v[124:125], v[6:7], s[36:37], -v[124:125]
	v_fma_f64 v[130:131], v[4:5], s[20:21], -v[126:127]
	v_fma_f64 v[126:127], v[4:5], s[20:21], v[126:127]
	v_add_f64 v[124:125], v[124:125], v[132:133]
	v_mul_f64 v[132:133], v[112:113], s[52:53]
	v_add_f64 v[128:129], v[128:129], v[134:135]
	v_add_f64 v[130:131], v[130:131], v[138:139]
	v_add_f64 v[126:127], v[126:127], v[136:137]
	v_mul_f64 v[136:137], v[114:115], s[48:49]
	v_fma_f64 v[134:135], v[6:7], s[20:21], v[132:133]
	v_fma_f64 v[132:133], v[6:7], s[20:21], -v[132:133]
	v_fma_f64 v[138:139], v[4:5], s[16:17], -v[136:137]
	v_fma_f64 v[136:137], v[4:5], s[16:17], v[136:137]
	v_add_f64 v[132:133], v[132:133], v[140:141]
	v_mul_f64 v[140:141], v[112:113], s[48:49]
	v_add_f64 v[134:135], v[134:135], v[142:143]
	v_add_f64 v[138:139], v[138:139], v[146:147]
	v_add_f64 v[136:137], v[136:137], v[144:145]
	v_mul_f64 v[144:145], v[114:115], s[34:35]
	v_fma_f64 v[142:143], v[6:7], s[16:17], v[140:141]
	v_fma_f64 v[140:141], v[6:7], s[16:17], -v[140:141]
	v_fma_f64 v[146:147], v[4:5], s[22:23], -v[144:145]
	v_fma_f64 v[144:145], v[4:5], s[22:23], v[144:145]
	v_add_f64 v[140:141], v[140:141], v[148:149]
	v_mul_f64 v[148:149], v[112:113], s[34:35]
	v_add_f64 v[142:143], v[142:143], v[150:151]
	v_add_f64 v[146:147], v[146:147], v[154:155]
	v_add_f64 v[144:145], v[144:145], v[152:153]
	v_mul_f64 v[152:153], v[114:115], s[42:43]
	v_fma_f64 v[150:151], v[6:7], s[22:23], v[148:149]
	v_fma_f64 v[148:149], v[6:7], s[22:23], -v[148:149]
	v_mul_f64 v[114:115], v[114:115], s[28:29]
	v_fma_f64 v[154:155], v[4:5], s[0:1], -v[152:153]
	v_fma_f64 v[152:153], v[4:5], s[0:1], v[152:153]
	v_add_f64 v[148:149], v[148:149], v[156:157]
	v_mul_f64 v[156:157], v[112:113], s[42:43]
	v_mul_f64 v[112:113], v[112:113], s[28:29]
	v_add_f64 v[150:151], v[150:151], v[158:159]
	v_add_f64 v[154:155], v[154:155], v[162:163]
	;; [unrolled: 1-line block ×3, first 2 shown]
	v_fma_f64 v[160:161], v[4:5], s[30:31], -v[114:115]
	v_fma_f64 v[4:5], v[4:5], s[30:31], v[114:115]
	v_fma_f64 v[158:159], v[6:7], s[0:1], v[156:157]
	v_fma_f64 v[156:157], v[6:7], s[0:1], -v[156:157]
	v_fma_f64 v[162:163], v[6:7], s[30:31], v[112:113]
	v_add_f64 v[160:161], v[160:161], v[168:169]
	v_add_f64 v[0:1], v[4:5], v[0:1]
	v_fma_f64 v[4:5], v[6:7], s[30:31], -v[112:113]
	v_add_f64 v[6:7], v[106:107], v[110:111]
	v_add_f64 v[106:107], v[106:107], -v[110:111]
	v_add_f64 v[156:157], v[156:157], v[164:165]
	v_add_f64 v[158:159], v[158:159], v[166:167]
	;; [unrolled: 1-line block ×5, first 2 shown]
	v_add_f64 v[104:105], v[104:105], -v[108:109]
	v_mul_f64 v[108:109], v[106:107], s[42:43]
	v_fma_f64 v[110:111], v[4:5], s[0:1], -v[108:109]
	v_fma_f64 v[108:109], v[4:5], s[0:1], v[108:109]
	v_add_f64 v[10:11], v[110:111], v[10:11]
	v_mul_f64 v[110:111], v[104:105], s[42:43]
	v_add_f64 v[8:9], v[108:109], v[8:9]
	v_fma_f64 v[108:109], v[6:7], s[0:1], -v[110:111]
	v_fma_f64 v[112:113], v[6:7], s[0:1], v[110:111]
	v_add_f64 v[12:13], v[108:109], v[12:13]
	v_mul_f64 v[108:109], v[106:107], s[38:39]
	v_add_f64 v[14:15], v[112:113], v[14:15]
	;; [unrolled: 5-line block ×3, first 2 shown]
	v_fma_f64 v[112:113], v[6:7], s[36:37], v[110:111]
	v_fma_f64 v[108:109], v[6:7], s[36:37], -v[110:111]
	v_mul_f64 v[110:111], v[106:107], s[52:53]
	v_add_f64 v[112:113], v[112:113], v[120:121]
	v_add_f64 v[108:109], v[108:109], v[116:117]
	v_fma_f64 v[114:115], v[4:5], s[20:21], -v[110:111]
	v_fma_f64 v[110:111], v[4:5], s[20:21], v[110:111]
	v_mul_f64 v[116:117], v[104:105], s[52:53]
	v_add_f64 v[114:115], v[114:115], v[122:123]
	v_add_f64 v[110:111], v[110:111], v[118:119]
	v_mul_f64 v[118:119], v[106:107], s[46:47]
	v_fma_f64 v[120:121], v[6:7], s[20:21], v[116:117]
	v_fma_f64 v[116:117], v[6:7], s[20:21], -v[116:117]
	v_fma_f64 v[122:123], v[4:5], s[22:23], -v[118:119]
	v_fma_f64 v[118:119], v[4:5], s[22:23], v[118:119]
	v_add_f64 v[116:117], v[116:117], v[124:125]
	v_mul_f64 v[124:125], v[104:105], s[46:47]
	v_add_f64 v[120:121], v[120:121], v[128:129]
	v_add_f64 v[122:123], v[122:123], v[130:131]
	v_add_f64 v[118:119], v[118:119], v[126:127]
	v_mul_f64 v[126:127], v[106:107], s[50:51]
	v_fma_f64 v[128:129], v[6:7], s[22:23], v[124:125]
	v_fma_f64 v[124:125], v[6:7], s[22:23], -v[124:125]
	v_fma_f64 v[130:131], v[4:5], s[14:15], -v[126:127]
	v_fma_f64 v[126:127], v[4:5], s[14:15], v[126:127]
	v_add_f64 v[124:125], v[124:125], v[132:133]
	v_mul_f64 v[132:133], v[104:105], s[50:51]
	v_add_f64 v[128:129], v[128:129], v[134:135]
	;; [unrolled: 10-line block ×3, first 2 shown]
	v_add_f64 v[138:139], v[138:139], v[146:147]
	v_add_f64 v[136:137], v[136:137], v[144:145]
	v_mul_f64 v[144:145], v[106:107], s[58:59]
	v_fma_f64 v[142:143], v[6:7], s[30:31], v[140:141]
	v_fma_f64 v[140:141], v[6:7], s[30:31], -v[140:141]
	v_mul_f64 v[106:107], v[106:107], s[48:49]
	v_fma_f64 v[146:147], v[4:5], s[24:25], -v[144:145]
	v_fma_f64 v[144:145], v[4:5], s[24:25], v[144:145]
	v_add_f64 v[140:141], v[140:141], v[148:149]
	v_mul_f64 v[148:149], v[104:105], s[58:59]
	v_mul_f64 v[104:105], v[104:105], s[48:49]
	v_add_f64 v[142:143], v[142:143], v[150:151]
	v_add_f64 v[146:147], v[146:147], v[154:155]
	;; [unrolled: 1-line block ×3, first 2 shown]
	v_fma_f64 v[152:153], v[4:5], s[16:17], -v[106:107]
	v_fma_f64 v[4:5], v[4:5], s[16:17], v[106:107]
	v_fma_f64 v[150:151], v[6:7], s[24:25], v[148:149]
	v_fma_f64 v[148:149], v[6:7], s[24:25], -v[148:149]
	v_fma_f64 v[154:155], v[6:7], s[16:17], v[104:105]
	v_add_f64 v[152:153], v[152:153], v[160:161]
	v_add_f64 v[0:1], v[4:5], v[0:1]
	v_fma_f64 v[4:5], v[6:7], s[16:17], -v[104:105]
	v_add_f64 v[6:7], v[98:99], v[102:103]
	v_add_f64 v[98:99], v[98:99], -v[102:103]
	v_add_f64 v[148:149], v[148:149], v[156:157]
	v_add_f64 v[150:151], v[150:151], v[158:159]
	;; [unrolled: 1-line block ×5, first 2 shown]
	v_add_f64 v[96:97], v[96:97], -v[100:101]
	v_mul_f64 v[100:101], v[98:99], s[18:19]
	v_fma_f64 v[102:103], v[4:5], s[20:21], -v[100:101]
	v_fma_f64 v[100:101], v[4:5], s[20:21], v[100:101]
	v_add_f64 v[10:11], v[102:103], v[10:11]
	v_mul_f64 v[102:103], v[96:97], s[18:19]
	v_add_f64 v[8:9], v[100:101], v[8:9]
	v_fma_f64 v[100:101], v[6:7], s[20:21], -v[102:103]
	v_fma_f64 v[104:105], v[6:7], s[20:21], v[102:103]
	v_add_f64 v[12:13], v[100:101], v[12:13]
	v_mul_f64 v[100:101], v[98:99], s[56:57]
	v_add_f64 v[14:15], v[104:105], v[14:15]
	;; [unrolled: 5-line block ×3, first 2 shown]
	v_fma_f64 v[104:105], v[6:7], s[30:31], v[102:103]
	v_fma_f64 v[100:101], v[6:7], s[30:31], -v[102:103]
	v_mul_f64 v[102:103], v[98:99], s[48:49]
	v_add_f64 v[104:105], v[104:105], v[112:113]
	v_add_f64 v[100:101], v[100:101], v[108:109]
	v_fma_f64 v[106:107], v[4:5], s[16:17], -v[102:103]
	v_fma_f64 v[102:103], v[4:5], s[16:17], v[102:103]
	v_mul_f64 v[108:109], v[96:97], s[48:49]
	v_add_f64 v[106:107], v[106:107], v[114:115]
	v_add_f64 v[102:103], v[102:103], v[110:111]
	v_mul_f64 v[110:111], v[98:99], s[50:51]
	v_fma_f64 v[112:113], v[6:7], s[16:17], v[108:109]
	v_fma_f64 v[108:109], v[6:7], s[16:17], -v[108:109]
	v_fma_f64 v[114:115], v[4:5], s[14:15], -v[110:111]
	v_fma_f64 v[110:111], v[4:5], s[14:15], v[110:111]
	v_add_f64 v[108:109], v[108:109], v[116:117]
	v_mul_f64 v[116:117], v[96:97], s[50:51]
	v_add_f64 v[112:113], v[112:113], v[120:121]
	v_add_f64 v[114:115], v[114:115], v[122:123]
	v_add_f64 v[110:111], v[110:111], v[118:119]
	v_mul_f64 v[118:119], v[98:99], s[38:39]
	v_fma_f64 v[120:121], v[6:7], s[14:15], v[116:117]
	v_fma_f64 v[116:117], v[6:7], s[14:15], -v[116:117]
	v_fma_f64 v[122:123], v[4:5], s[36:37], -v[118:119]
	v_fma_f64 v[118:119], v[4:5], s[36:37], v[118:119]
	v_add_f64 v[116:117], v[116:117], v[124:125]
	v_mul_f64 v[124:125], v[96:97], s[38:39]
	v_add_f64 v[120:121], v[120:121], v[128:129]
	;; [unrolled: 10-line block ×3, first 2 shown]
	v_add_f64 v[130:131], v[130:131], v[138:139]
	v_add_f64 v[126:127], v[126:127], v[136:137]
	v_mul_f64 v[136:137], v[98:99], s[34:35]
	v_fma_f64 v[134:135], v[6:7], s[0:1], v[132:133]
	v_fma_f64 v[132:133], v[6:7], s[0:1], -v[132:133]
	v_mul_f64 v[98:99], v[98:99], s[26:27]
	v_fma_f64 v[138:139], v[4:5], s[22:23], -v[136:137]
	v_fma_f64 v[136:137], v[4:5], s[22:23], v[136:137]
	v_add_f64 v[132:133], v[132:133], v[140:141]
	v_mul_f64 v[140:141], v[96:97], s[34:35]
	v_mul_f64 v[96:97], v[96:97], s[26:27]
	v_add_f64 v[134:135], v[134:135], v[142:143]
	v_add_f64 v[138:139], v[138:139], v[146:147]
	;; [unrolled: 1-line block ×3, first 2 shown]
	v_fma_f64 v[144:145], v[4:5], s[24:25], -v[98:99]
	v_fma_f64 v[4:5], v[4:5], s[24:25], v[98:99]
	v_fma_f64 v[142:143], v[6:7], s[22:23], v[140:141]
	v_fma_f64 v[140:141], v[6:7], s[22:23], -v[140:141]
	v_fma_f64 v[146:147], v[6:7], s[24:25], v[96:97]
	v_add_f64 v[144:145], v[144:145], v[152:153]
	v_add_f64 v[0:1], v[4:5], v[0:1]
	v_fma_f64 v[4:5], v[6:7], s[24:25], -v[96:97]
	v_add_f64 v[6:7], v[90:91], v[94:95]
	v_add_f64 v[90:91], v[90:91], -v[94:95]
	v_add_f64 v[140:141], v[140:141], v[148:149]
	v_add_f64 v[142:143], v[142:143], v[150:151]
	;; [unrolled: 1-line block ×5, first 2 shown]
	v_add_f64 v[88:89], v[88:89], -v[92:93]
	v_mul_f64 v[92:93], v[90:91], s[26:27]
	v_fma_f64 v[94:95], v[4:5], s[24:25], -v[92:93]
	v_fma_f64 v[92:93], v[4:5], s[24:25], v[92:93]
	v_add_f64 v[10:11], v[94:95], v[10:11]
	v_mul_f64 v[94:95], v[88:89], s[26:27]
	v_add_f64 v[8:9], v[92:93], v[8:9]
	v_fma_f64 v[92:93], v[6:7], s[24:25], -v[94:95]
	v_fma_f64 v[96:97], v[6:7], s[24:25], v[94:95]
	v_add_f64 v[12:13], v[92:93], v[12:13]
	v_mul_f64 v[92:93], v[90:91], s[52:53]
	v_add_f64 v[14:15], v[96:97], v[14:15]
	;; [unrolled: 5-line block ×3, first 2 shown]
	v_fma_f64 v[96:97], v[6:7], s[20:21], v[94:95]
	v_fma_f64 v[92:93], v[6:7], s[20:21], -v[94:95]
	v_mul_f64 v[94:95], v[90:91], s[34:35]
	v_add_f64 v[96:97], v[96:97], v[104:105]
	v_add_f64 v[92:93], v[92:93], v[100:101]
	v_fma_f64 v[98:99], v[4:5], s[22:23], -v[94:95]
	v_fma_f64 v[94:95], v[4:5], s[22:23], v[94:95]
	v_mul_f64 v[100:101], v[88:89], s[34:35]
	v_add_f64 v[98:99], v[98:99], v[106:107]
	v_add_f64 v[94:95], v[94:95], v[102:103]
	v_mul_f64 v[102:103], v[90:91], s[28:29]
	v_fma_f64 v[104:105], v[6:7], s[22:23], v[100:101]
	v_fma_f64 v[100:101], v[6:7], s[22:23], -v[100:101]
	v_fma_f64 v[106:107], v[4:5], s[30:31], -v[102:103]
	v_fma_f64 v[102:103], v[4:5], s[30:31], v[102:103]
	v_add_f64 v[100:101], v[100:101], v[108:109]
	v_mul_f64 v[108:109], v[88:89], s[28:29]
	v_add_f64 v[104:105], v[104:105], v[112:113]
	v_add_f64 v[106:107], v[106:107], v[114:115]
	v_add_f64 v[102:103], v[102:103], v[110:111]
	v_mul_f64 v[110:111], v[90:91], s[54:55]
	v_fma_f64 v[112:113], v[6:7], s[30:31], v[108:109]
	v_fma_f64 v[108:109], v[6:7], s[30:31], -v[108:109]
	v_fma_f64 v[114:115], v[4:5], s[0:1], -v[110:111]
	v_fma_f64 v[110:111], v[4:5], s[0:1], v[110:111]
	v_add_f64 v[108:109], v[108:109], v[116:117]
	v_mul_f64 v[116:117], v[88:89], s[54:55]
	v_add_f64 v[112:113], v[112:113], v[120:121]
	;; [unrolled: 10-line block ×3, first 2 shown]
	v_add_f64 v[122:123], v[122:123], v[130:131]
	v_add_f64 v[118:119], v[118:119], v[126:127]
	v_mul_f64 v[126:127], v[90:91], s[38:39]
	v_fma_f64 v[128:129], v[6:7], s[16:17], v[124:125]
	v_fma_f64 v[124:125], v[6:7], s[16:17], -v[124:125]
	v_mul_f64 v[90:91], v[90:91], s[40:41]
	v_fma_f64 v[130:131], v[4:5], s[36:37], -v[126:127]
	v_fma_f64 v[126:127], v[4:5], s[36:37], v[126:127]
	v_add_f64 v[124:125], v[124:125], v[132:133]
	v_mul_f64 v[132:133], v[88:89], s[38:39]
	v_mul_f64 v[88:89], v[88:89], s[40:41]
	v_add_f64 v[128:129], v[128:129], v[134:135]
	v_add_f64 v[130:131], v[130:131], v[138:139]
	;; [unrolled: 1-line block ×3, first 2 shown]
	v_fma_f64 v[136:137], v[4:5], s[14:15], -v[90:91]
	v_fma_f64 v[4:5], v[4:5], s[14:15], v[90:91]
	v_fma_f64 v[134:135], v[6:7], s[36:37], v[132:133]
	v_fma_f64 v[132:133], v[6:7], s[36:37], -v[132:133]
	v_fma_f64 v[138:139], v[6:7], s[14:15], v[88:89]
	v_add_f64 v[136:137], v[136:137], v[144:145]
	v_add_f64 v[0:1], v[4:5], v[0:1]
	v_fma_f64 v[4:5], v[6:7], s[14:15], -v[88:89]
	v_add_f64 v[6:7], v[82:83], v[86:87]
	v_add_f64 v[82:83], v[82:83], -v[86:87]
	v_add_f64 v[132:133], v[132:133], v[140:141]
	v_add_f64 v[134:135], v[134:135], v[142:143]
	;; [unrolled: 1-line block ×5, first 2 shown]
	v_add_f64 v[80:81], v[80:81], -v[84:85]
	v_mul_f64 v[84:85], v[82:83], s[28:29]
	v_fma_f64 v[86:87], v[4:5], s[30:31], -v[84:85]
	v_fma_f64 v[84:85], v[4:5], s[30:31], v[84:85]
	v_add_f64 v[10:11], v[86:87], v[10:11]
	v_mul_f64 v[86:87], v[80:81], s[28:29]
	v_add_f64 v[8:9], v[84:85], v[8:9]
	v_fma_f64 v[84:85], v[6:7], s[30:31], -v[86:87]
	v_fma_f64 v[88:89], v[6:7], s[30:31], v[86:87]
	v_add_f64 v[12:13], v[84:85], v[12:13]
	v_mul_f64 v[84:85], v[82:83], s[40:41]
	v_add_f64 v[14:15], v[88:89], v[14:15]
	;; [unrolled: 5-line block ×3, first 2 shown]
	v_fma_f64 v[84:85], v[6:7], s[14:15], -v[86:87]
	v_fma_f64 v[88:89], v[6:7], s[14:15], v[86:87]
	v_add_f64 v[86:87], v[84:85], v[92:93]
	v_mul_f64 v[84:85], v[82:83], s[42:43]
	v_mul_f64 v[92:93], v[80:81], s[42:43]
	v_add_f64 v[88:89], v[88:89], v[96:97]
	v_fma_f64 v[90:91], v[4:5], s[0:1], -v[84:85]
	v_fma_f64 v[84:85], v[4:5], s[0:1], v[84:85]
	v_fma_f64 v[96:97], v[6:7], s[0:1], v[92:93]
	v_add_f64 v[90:91], v[90:91], v[98:99]
	v_add_f64 v[94:95], v[84:85], v[94:95]
	v_fma_f64 v[84:85], v[6:7], s[0:1], -v[92:93]
	v_add_f64 v[96:97], v[96:97], v[104:105]
	v_add_f64 v[98:99], v[84:85], v[100:101]
	v_mul_f64 v[84:85], v[82:83], s[58:59]
	v_fma_f64 v[92:93], v[4:5], s[24:25], -v[84:85]
	v_fma_f64 v[84:85], v[4:5], s[24:25], v[84:85]
	v_add_f64 v[100:101], v[92:93], v[106:107]
	v_mul_f64 v[92:93], v[80:81], s[58:59]
	v_add_f64 v[102:103], v[84:85], v[102:103]
	v_fma_f64 v[84:85], v[6:7], s[24:25], -v[92:93]
	v_fma_f64 v[104:105], v[6:7], s[24:25], v[92:93]
	v_add_f64 v[106:107], v[84:85], v[108:109]
	v_mul_f64 v[84:85], v[82:83], s[34:35]
	v_add_f64 v[104:105], v[104:105], v[112:113]
	;; [unrolled: 5-line block ×5, first 2 shown]
	v_fma_f64 v[84:85], v[6:7], s[36:37], -v[92:93]
	v_fma_f64 v[120:121], v[6:7], s[36:37], v[92:93]
	v_add_f64 v[122:123], v[84:85], v[124:125]
	v_mul_f64 v[84:85], v[82:83], s[48:49]
	v_mul_f64 v[82:83], v[82:83], s[18:19]
	v_add_f64 v[120:121], v[120:121], v[128:129]
	v_fma_f64 v[92:93], v[4:5], s[16:17], -v[84:85]
	v_fma_f64 v[84:85], v[4:5], s[16:17], v[84:85]
	v_add_f64 v[124:125], v[92:93], v[130:131]
	v_mul_f64 v[92:93], v[80:81], s[48:49]
	v_add_f64 v[126:127], v[84:85], v[126:127]
	v_mul_f64 v[80:81], v[80:81], s[18:19]
	v_fma_f64 v[84:85], v[6:7], s[16:17], -v[92:93]
	v_fma_f64 v[128:129], v[6:7], s[16:17], v[92:93]
	v_add_f64 v[130:131], v[84:85], v[132:133]
	v_fma_f64 v[84:85], v[4:5], s[20:21], -v[82:83]
	v_fma_f64 v[4:5], v[4:5], s[20:21], v[82:83]
	v_add_f64 v[128:129], v[128:129], v[134:135]
	v_add_f64 v[132:133], v[84:85], v[136:137]
	v_fma_f64 v[84:85], v[6:7], s[20:21], v[80:81]
	v_add_f64 v[0:1], v[4:5], v[0:1]
	v_fma_f64 v[4:5], v[6:7], s[20:21], -v[80:81]
	v_add_f64 v[136:137], v[72:73], -v[76:77]
	v_add_f64 v[6:7], v[74:75], v[78:79]
	v_add_f64 v[134:135], v[84:85], v[138:139]
	v_add_f64 v[138:139], v[74:75], -v[78:79]
	v_add_f64 v[2:3], v[4:5], v[2:3]
	v_add_f64 v[4:5], v[72:73], v[76:77]
	v_mul_f64 v[76:77], v[138:139], s[38:39]
	v_fma_f64 v[72:73], v[4:5], s[36:37], -v[76:77]
	v_add_f64 v[72:73], v[72:73], v[10:11]
	v_mul_f64 v[10:11], v[136:137], s[38:39]
	v_fma_f64 v[74:75], v[6:7], s[36:37], v[10:11]
	v_add_f64 v[74:75], v[74:75], v[14:15]
	v_fma_f64 v[14:15], v[4:5], s[36:37], v[76:77]
	v_add_f64 v[76:77], v[14:15], v[8:9]
	v_fma_f64 v[8:9], v[6:7], s[36:37], -v[10:11]
	v_add_f64 v[78:79], v[8:9], v[12:13]
	v_mul_f64 v[8:9], v[138:139], s[46:47]
	v_fma_f64 v[10:11], v[4:5], s[22:23], -v[8:9]
	v_fma_f64 v[8:9], v[4:5], s[22:23], v[8:9]
	v_add_f64 v[80:81], v[10:11], v[18:19]
	v_mul_f64 v[10:11], v[136:137], s[46:47]
	v_add_f64 v[84:85], v[8:9], v[16:17]
	v_fma_f64 v[8:9], v[6:7], s[22:23], -v[10:11]
	v_fma_f64 v[12:13], v[6:7], s[22:23], v[10:11]
	v_add_f64 v[86:87], v[8:9], v[86:87]
	v_mul_f64 v[8:9], v[138:139], s[28:29]
	v_add_f64 v[82:83], v[12:13], v[88:89]
	;; [unrolled: 5-line block ×13, first 2 shown]
	v_fma_f64 v[12:13], v[6:7], s[0:1], v[10:11]
	v_fma_f64 v[0:1], v[6:7], s[0:1], -v[10:11]
	v_add_f64 v[130:131], v[12:13], v[134:135]
	v_add_f64 v[134:135], v[0:1], v[2:3]
	v_mul_lo_u16_e32 v0, 17, v250
	v_lshlrev_b32_e32 v252, 4, v0
	v_mul_lo_u16_sdwa v0, v250, s33 dst_sel:DWORD dst_unused:UNUSED_PAD src0_sel:BYTE_0 src1_sel:DWORD
	v_lshrrev_b16_e32 v202, 12, v0
	v_mul_lo_u16_e32 v0, 17, v202
	v_sub_u16_e32 v0, v250, v0
	v_and_b32_e32 v203, 0xff, v0
	v_lshlrev_b32_e32 v2, 8, v203
	ds_write_b128 v252, v[68:71]
	ds_write_b128 v252, v[72:75] offset:16
	ds_write_b128 v252, v[80:83] offset:32
	;; [unrolled: 1-line block ×16, first 2 shown]
	s_waitcnt lgkmcnt(0)
	; wave barrier
	s_waitcnt lgkmcnt(0)
	ds_read_b128 v[72:75], v249
	ds_read_b128 v[88:91], v249 offset:816
	ds_read_b128 v[92:95], v249 offset:1632
	;; [unrolled: 1-line block ×16, first 2 shown]
	global_load_dwordx4 v[120:123], v2, s[10:11] offset:48
	global_load_dwordx4 v[124:127], v2, s[10:11] offset:32
	;; [unrolled: 1-line block ×3, first 2 shown]
	global_load_dwordx4 v[144:147], v2, s[10:11]
	global_load_dwordx4 v[132:135], v2, s[10:11] offset:112
	global_load_dwordx4 v[136:139], v2, s[10:11] offset:96
	;; [unrolled: 1-line block ×4, first 2 shown]
	s_waitcnt vmcnt(4) lgkmcnt(14)
	v_mul_f64 v[0:1], v[90:91], v[146:147]
	v_fma_f64 v[200:201], v[88:89], v[144:145], -v[0:1]
	v_mul_f64 v[0:1], v[88:89], v[146:147]
	v_add_f64 v[4:5], v[72:73], v[200:201]
	v_fma_f64 v[198:199], v[90:91], v[144:145], v[0:1]
	v_mul_f64 v[0:1], v[94:95], v[130:131]
	v_add_f64 v[6:7], v[74:75], v[198:199]
	v_fma_f64 v[194:195], v[92:93], v[128:129], -v[0:1]
	v_mul_f64 v[0:1], v[92:93], v[130:131]
	v_add_f64 v[4:5], v[4:5], v[194:195]
	v_fma_f64 v[192:193], v[94:95], v[128:129], v[0:1]
	s_waitcnt lgkmcnt(13)
	v_mul_f64 v[0:1], v[98:99], v[126:127]
	v_add_f64 v[6:7], v[6:7], v[192:193]
	v_fma_f64 v[190:191], v[96:97], v[124:125], -v[0:1]
	v_mul_f64 v[0:1], v[96:97], v[126:127]
	v_add_f64 v[4:5], v[4:5], v[190:191]
	v_fma_f64 v[188:189], v[98:99], v[124:125], v[0:1]
	s_waitcnt lgkmcnt(12)
	v_mul_f64 v[0:1], v[102:103], v[122:123]
	v_add_f64 v[6:7], v[6:7], v[188:189]
	v_fma_f64 v[118:119], v[100:101], v[120:121], -v[0:1]
	v_mul_f64 v[0:1], v[100:101], v[122:123]
	v_add_f64 v[4:5], v[4:5], v[118:119]
	v_fma_f64 v[116:117], v[102:103], v[120:121], v[0:1]
	s_waitcnt vmcnt(0) lgkmcnt(11)
	v_mul_f64 v[0:1], v[106:107], v[162:163]
	v_add_f64 v[6:7], v[6:7], v[116:117]
	v_fma_f64 v[114:115], v[104:105], v[160:161], -v[0:1]
	v_mul_f64 v[0:1], v[104:105], v[162:163]
	v_add_f64 v[4:5], v[4:5], v[114:115]
	v_fma_f64 v[112:113], v[106:107], v[160:161], v[0:1]
	s_waitcnt lgkmcnt(10)
	v_mul_f64 v[0:1], v[110:111], v[142:143]
	v_add_f64 v[6:7], v[6:7], v[112:113]
	v_fma_f64 v[106:107], v[108:109], v[140:141], -v[0:1]
	v_mul_f64 v[0:1], v[108:109], v[142:143]
	v_add_f64 v[4:5], v[4:5], v[106:107]
	v_fma_f64 v[104:105], v[110:111], v[140:141], v[0:1]
	s_waitcnt lgkmcnt(9)
	v_mul_f64 v[0:1], v[150:151], v[138:139]
	v_add_f64 v[6:7], v[6:7], v[104:105]
	v_fma_f64 v[98:99], v[148:149], v[136:137], -v[0:1]
	v_mul_f64 v[0:1], v[148:149], v[138:139]
	v_add_f64 v[4:5], v[4:5], v[98:99]
	v_fma_f64 v[96:97], v[150:151], v[136:137], v[0:1]
	s_waitcnt lgkmcnt(8)
	v_mul_f64 v[0:1], v[154:155], v[134:135]
	v_add_f64 v[6:7], v[6:7], v[96:97]
	v_fma_f64 v[90:91], v[152:153], v[132:133], -v[0:1]
	v_mul_f64 v[0:1], v[152:153], v[134:135]
	v_add_f64 v[4:5], v[4:5], v[90:91]
	v_fma_f64 v[88:89], v[154:155], v[132:133], v[0:1]
	global_load_dwordx4 v[148:151], v2, s[10:11] offset:176
	global_load_dwordx4 v[152:155], v2, s[10:11] offset:160
	;; [unrolled: 1-line block ×4, first 2 shown]
	v_add_f64 v[6:7], v[6:7], v[88:89]
	s_waitcnt vmcnt(0) lgkmcnt(7)
	v_mul_f64 v[0:1], v[166:167], v[178:179]
	v_fma_f64 v[94:95], v[164:165], v[176:177], -v[0:1]
	v_mul_f64 v[0:1], v[164:165], v[178:179]
	v_add_f64 v[4:5], v[4:5], v[94:95]
	v_fma_f64 v[92:93], v[166:167], v[176:177], v[0:1]
	s_waitcnt lgkmcnt(6)
	v_mul_f64 v[0:1], v[170:171], v[158:159]
	v_add_f64 v[6:7], v[6:7], v[92:93]
	v_fma_f64 v[102:103], v[168:169], v[156:157], -v[0:1]
	v_mul_f64 v[0:1], v[168:169], v[158:159]
	v_add_f64 v[4:5], v[4:5], v[102:103]
	v_fma_f64 v[100:101], v[170:171], v[156:157], v[0:1]
	s_waitcnt lgkmcnt(5)
	v_mul_f64 v[0:1], v[174:175], v[154:155]
	v_add_f64 v[6:7], v[6:7], v[100:101]
	;; [unrolled: 7-line block ×3, first 2 shown]
	v_fma_f64 v[186:187], v[180:181], v[148:149], -v[0:1]
	v_mul_f64 v[0:1], v[180:181], v[150:151]
	v_add_f64 v[4:5], v[4:5], v[186:187]
	v_fma_f64 v[184:185], v[182:183], v[148:149], v[0:1]
	global_load_dwordx4 v[164:167], v2, s[10:11] offset:240
	global_load_dwordx4 v[168:171], v2, s[10:11] offset:224
	global_load_dwordx4 v[172:175], v2, s[10:11] offset:208
	global_load_dwordx4 v[180:183], v2, s[10:11] offset:192
	s_waitcnt lgkmcnt(0)
	; wave barrier
	s_waitcnt lgkmcnt(0)
	v_add_f64 v[6:7], v[6:7], v[184:185]
	s_waitcnt vmcnt(3)
	v_mul_f64 v[2:3], v[68:69], v[166:167]
	s_waitcnt vmcnt(0)
	v_mul_f64 v[0:1], v[86:87], v[182:183]
	v_fma_f64 v[2:3], v[70:71], v[164:165], v[2:3]
	v_fma_f64 v[196:197], v[84:85], v[180:181], -v[0:1]
	v_mul_f64 v[0:1], v[84:85], v[182:183]
	v_add_f64 v[4:5], v[4:5], v[196:197]
	v_fma_f64 v[84:85], v[86:87], v[180:181], v[0:1]
	v_mul_f64 v[0:1], v[82:83], v[174:175]
	v_add_f64 v[6:7], v[6:7], v[84:85]
	v_fma_f64 v[86:87], v[80:81], v[172:173], -v[0:1]
	v_mul_f64 v[0:1], v[80:81], v[174:175]
	v_add_f64 v[4:5], v[4:5], v[86:87]
	v_fma_f64 v[80:81], v[82:83], v[172:173], v[0:1]
	v_mul_f64 v[0:1], v[78:79], v[170:171]
	v_add_f64 v[6:7], v[6:7], v[80:81]
	;; [unrolled: 6-line block ×3, first 2 shown]
	v_fma_f64 v[0:1], v[68:69], v[164:165], -v[0:1]
	v_add_f64 v[70:71], v[6:7], v[2:3]
	v_add_f64 v[68:69], v[4:5], v[0:1]
	v_add_f64 v[4:5], v[200:201], v[0:1]
	v_add_f64 v[0:1], v[200:201], -v[0:1]
	v_add_f64 v[6:7], v[198:199], v[2:3]
	v_add_f64 v[2:3], v[198:199], -v[2:3]
	v_mul_f64 v[12:13], v[0:1], s[34:35]
	v_mul_f64 v[78:79], v[0:1], s[44:45]
	;; [unrolled: 1-line block ×8, first 2 shown]
	v_fma_f64 v[14:15], v[6:7], s[22:23], v[12:13]
	v_fma_f64 v[12:13], v[6:7], s[22:23], -v[12:13]
	v_fma_f64 v[198:199], v[6:7], s[16:17], v[78:79]
	v_fma_f64 v[78:79], v[6:7], s[16:17], -v[78:79]
	;; [unrolled: 2-line block ×8, first 2 shown]
	v_mul_f64 v[8:9], v[2:3], s[34:35]
	v_add_f64 v[14:15], v[74:75], v[14:15]
	v_add_f64 v[12:13], v[74:75], v[12:13]
	v_mul_f64 v[16:17], v[2:3], s[44:45]
	v_add_f64 v[198:199], v[74:75], v[198:199]
	v_add_f64 v[78:79], v[74:75], v[78:79]
	;; [unrolled: 3-line block ×8, first 2 shown]
	v_add_f64 v[74:75], v[192:193], -v[76:77]
	v_fma_f64 v[10:11], v[4:5], s[22:23], -v[8:9]
	v_fma_f64 v[8:9], v[4:5], s[22:23], v[8:9]
	v_fma_f64 v[18:19], v[4:5], s[16:17], -v[16:17]
	v_fma_f64 v[16:17], v[4:5], s[16:17], v[16:17]
	;; [unrolled: 2-line block ×8, first 2 shown]
	v_add_f64 v[4:5], v[194:195], v[82:83]
	v_add_f64 v[6:7], v[192:193], v[76:77]
	v_mul_f64 v[76:77], v[74:75], s[44:45]
	v_add_f64 v[10:11], v[72:73], v[10:11]
	v_add_f64 v[8:9], v[72:73], v[8:9]
	;; [unrolled: 1-line block ×16, first 2 shown]
	v_add_f64 v[72:73], v[194:195], -v[82:83]
	v_fma_f64 v[82:83], v[4:5], s[16:17], -v[76:77]
	v_fma_f64 v[76:77], v[4:5], s[16:17], v[76:77]
	v_mul_f64 v[194:195], v[72:73], s[26:27]
	v_add_f64 v[10:11], v[82:83], v[10:11]
	v_mul_f64 v[82:83], v[72:73], s[44:45]
	v_add_f64 v[8:9], v[76:77], v[8:9]
	v_fma_f64 v[76:77], v[6:7], s[16:17], -v[82:83]
	v_fma_f64 v[192:193], v[6:7], s[16:17], v[82:83]
	v_add_f64 v[12:13], v[76:77], v[12:13]
	v_mul_f64 v[76:77], v[74:75], s[42:43]
	v_add_f64 v[14:15], v[192:193], v[14:15]
	v_fma_f64 v[82:83], v[4:5], s[0:1], -v[76:77]
	v_fma_f64 v[76:77], v[4:5], s[0:1], v[76:77]
	;; [unrolled: 5-line block ×3, first 2 shown]
	v_add_f64 v[76:77], v[76:77], v[78:79]
	v_mul_f64 v[78:79], v[74:75], s[26:27]
	v_add_f64 v[192:193], v[192:193], v[198:199]
	v_fma_f64 v[198:199], v[6:7], s[24:25], v[194:195]
	v_fma_f64 v[194:195], v[6:7], s[24:25], -v[194:195]
	v_fma_f64 v[82:83], v[4:5], s[24:25], -v[78:79]
	v_fma_f64 v[78:79], v[4:5], s[24:25], v[78:79]
	v_add_f64 v[198:199], v[198:199], v[208:209]
	v_add_f64 v[194:195], v[194:195], v[206:207]
	v_mul_f64 v[206:207], v[72:73], s[38:39]
	v_add_f64 v[82:83], v[82:83], v[204:205]
	v_add_f64 v[78:79], v[78:79], v[200:201]
	v_mul_f64 v[200:201], v[74:75], s[38:39]
	v_fma_f64 v[208:209], v[6:7], s[36:37], v[206:207]
	v_fma_f64 v[206:207], v[6:7], s[36:37], -v[206:207]
	v_fma_f64 v[204:205], v[4:5], s[36:37], -v[200:201]
	v_fma_f64 v[200:201], v[4:5], s[36:37], v[200:201]
	v_add_f64 v[208:209], v[208:209], v[216:217]
	v_add_f64 v[206:207], v[206:207], v[214:215]
	v_mul_f64 v[214:215], v[72:73], s[56:57]
	v_add_f64 v[204:205], v[204:205], v[212:213]
	v_add_f64 v[200:201], v[200:201], v[210:211]
	v_mul_f64 v[210:211], v[74:75], s[56:57]
	;; [unrolled: 10-line block ×3, first 2 shown]
	v_fma_f64 v[225:226], v[6:7], s[20:21], v[222:223]
	v_fma_f64 v[222:223], v[6:7], s[20:21], -v[222:223]
	v_fma_f64 v[220:221], v[4:5], s[20:21], -v[218:219]
	v_fma_f64 v[218:219], v[4:5], s[20:21], v[218:219]
	v_add_f64 v[225:226], v[225:226], v[233:234]
	v_add_f64 v[222:223], v[222:223], v[231:232]
	v_mul_f64 v[231:232], v[72:73], s[40:41]
	v_mul_f64 v[72:73], v[72:73], s[46:47]
	v_add_f64 v[220:221], v[220:221], v[229:230]
	v_add_f64 v[218:219], v[218:219], v[227:228]
	v_mul_f64 v[227:228], v[74:75], s[40:41]
	v_mul_f64 v[74:75], v[74:75], s[46:47]
	v_fma_f64 v[233:234], v[6:7], s[14:15], v[231:232]
	v_fma_f64 v[231:232], v[6:7], s[14:15], -v[231:232]
	v_fma_f64 v[229:230], v[4:5], s[14:15], -v[227:228]
	v_fma_f64 v[227:228], v[4:5], s[14:15], v[227:228]
	v_add_f64 v[233:234], v[233:234], v[241:242]
	v_add_f64 v[231:232], v[231:232], v[239:240]
	;; [unrolled: 1-line block ×4, first 2 shown]
	v_fma_f64 v[235:236], v[4:5], s[22:23], -v[74:75]
	v_fma_f64 v[4:5], v[4:5], s[22:23], v[74:75]
	v_add_f64 v[74:75], v[188:189], -v[80:81]
	v_fma_f64 v[237:238], v[6:7], s[22:23], v[72:73]
	v_add_f64 v[235:236], v[235:236], v[243:244]
	v_add_f64 v[2:3], v[4:5], v[2:3]
	v_fma_f64 v[4:5], v[6:7], s[22:23], -v[72:73]
	v_add_f64 v[6:7], v[188:189], v[80:81]
	v_mul_f64 v[80:81], v[74:75], s[50:51]
	v_add_f64 v[72:73], v[190:191], -v[86:87]
	v_add_f64 v[237:238], v[237:238], v[245:246]
	v_add_f64 v[0:1], v[4:5], v[0:1]
	;; [unrolled: 1-line block ×3, first 2 shown]
	v_fma_f64 v[86:87], v[4:5], s[14:15], -v[80:81]
	v_fma_f64 v[80:81], v[4:5], s[14:15], v[80:81]
	v_add_f64 v[10:11], v[86:87], v[10:11]
	v_mul_f64 v[86:87], v[72:73], s[50:51]
	v_add_f64 v[8:9], v[80:81], v[8:9]
	v_fma_f64 v[80:81], v[6:7], s[14:15], -v[86:87]
	v_fma_f64 v[188:189], v[6:7], s[14:15], v[86:87]
	v_add_f64 v[12:13], v[80:81], v[12:13]
	v_mul_f64 v[80:81], v[74:75], s[26:27]
	v_add_f64 v[14:15], v[188:189], v[14:15]
	;; [unrolled: 5-line block ×5, first 2 shown]
	v_fma_f64 v[190:191], v[6:7], s[36:37], v[86:87]
	v_fma_f64 v[80:81], v[6:7], s[36:37], -v[86:87]
	v_mul_f64 v[86:87], v[74:75], s[52:53]
	v_add_f64 v[190:191], v[190:191], v[198:199]
	v_add_f64 v[80:81], v[80:81], v[194:195]
	v_fma_f64 v[192:193], v[4:5], s[20:21], -v[86:87]
	v_fma_f64 v[86:87], v[4:5], s[20:21], v[86:87]
	v_mul_f64 v[194:195], v[72:73], s[52:53]
	v_add_f64 v[192:193], v[192:193], v[204:205]
	v_add_f64 v[86:87], v[86:87], v[200:201]
	v_mul_f64 v[200:201], v[74:75], s[48:49]
	v_fma_f64 v[198:199], v[6:7], s[20:21], v[194:195]
	v_fma_f64 v[194:195], v[6:7], s[20:21], -v[194:195]
	v_fma_f64 v[204:205], v[4:5], s[16:17], -v[200:201]
	v_fma_f64 v[200:201], v[4:5], s[16:17], v[200:201]
	v_add_f64 v[194:195], v[194:195], v[206:207]
	v_mul_f64 v[206:207], v[72:73], s[48:49]
	v_add_f64 v[198:199], v[198:199], v[208:209]
	v_add_f64 v[204:205], v[204:205], v[212:213]
	;; [unrolled: 1-line block ×3, first 2 shown]
	v_mul_f64 v[210:211], v[74:75], s[34:35]
	v_fma_f64 v[208:209], v[6:7], s[16:17], v[206:207]
	v_fma_f64 v[206:207], v[6:7], s[16:17], -v[206:207]
	v_fma_f64 v[212:213], v[4:5], s[22:23], -v[210:211]
	v_fma_f64 v[210:211], v[4:5], s[22:23], v[210:211]
	v_add_f64 v[206:207], v[206:207], v[214:215]
	v_mul_f64 v[214:215], v[72:73], s[34:35]
	v_add_f64 v[208:209], v[208:209], v[216:217]
	v_add_f64 v[212:213], v[212:213], v[220:221]
	;; [unrolled: 1-line block ×3, first 2 shown]
	v_mul_f64 v[218:219], v[74:75], s[42:43]
	v_fma_f64 v[216:217], v[6:7], s[22:23], v[214:215]
	v_fma_f64 v[214:215], v[6:7], s[22:23], -v[214:215]
	v_mul_f64 v[74:75], v[74:75], s[28:29]
	v_fma_f64 v[220:221], v[4:5], s[0:1], -v[218:219]
	v_fma_f64 v[218:219], v[4:5], s[0:1], v[218:219]
	v_add_f64 v[214:215], v[214:215], v[222:223]
	v_mul_f64 v[222:223], v[72:73], s[42:43]
	v_mul_f64 v[72:73], v[72:73], s[28:29]
	v_add_f64 v[216:217], v[216:217], v[225:226]
	v_add_f64 v[220:221], v[220:221], v[229:230]
	;; [unrolled: 1-line block ×3, first 2 shown]
	v_fma_f64 v[227:228], v[4:5], s[30:31], -v[74:75]
	v_fma_f64 v[4:5], v[4:5], s[30:31], v[74:75]
	v_add_f64 v[74:75], v[116:117], -v[84:85]
	v_fma_f64 v[225:226], v[6:7], s[0:1], v[222:223]
	v_fma_f64 v[222:223], v[6:7], s[0:1], -v[222:223]
	v_fma_f64 v[229:230], v[6:7], s[30:31], v[72:73]
	v_add_f64 v[227:228], v[227:228], v[235:236]
	v_add_f64 v[2:3], v[4:5], v[2:3]
	v_fma_f64 v[4:5], v[6:7], s[30:31], -v[72:73]
	v_add_f64 v[6:7], v[116:117], v[84:85]
	v_mul_f64 v[84:85], v[74:75], s[42:43]
	v_add_f64 v[72:73], v[118:119], -v[196:197]
	v_add_f64 v[222:223], v[222:223], v[231:232]
	v_add_f64 v[225:226], v[225:226], v[233:234]
	;; [unrolled: 1-line block ×5, first 2 shown]
	v_mul_f64 v[196:197], v[72:73], s[50:51]
	v_fma_f64 v[116:117], v[4:5], s[0:1], -v[84:85]
	v_fma_f64 v[84:85], v[4:5], s[0:1], v[84:85]
	v_add_f64 v[10:11], v[116:117], v[10:11]
	v_mul_f64 v[116:117], v[72:73], s[42:43]
	v_add_f64 v[8:9], v[84:85], v[8:9]
	v_fma_f64 v[84:85], v[6:7], s[0:1], -v[116:117]
	v_fma_f64 v[118:119], v[6:7], s[0:1], v[116:117]
	v_add_f64 v[12:13], v[84:85], v[12:13]
	v_mul_f64 v[84:85], v[74:75], s[38:39]
	v_add_f64 v[14:15], v[118:119], v[14:15]
	;; [unrolled: 5-line block ×6, first 2 shown]
	v_mul_f64 v[190:191], v[72:73], s[46:47]
	v_fma_f64 v[116:117], v[4:5], s[22:23], -v[84:85]
	v_fma_f64 v[84:85], v[4:5], s[22:23], v[84:85]
	v_add_f64 v[116:117], v[116:117], v[192:193]
	v_fma_f64 v[192:193], v[6:7], s[22:23], v[190:191]
	v_add_f64 v[84:85], v[84:85], v[86:87]
	v_fma_f64 v[86:87], v[6:7], s[22:23], -v[190:191]
	v_mul_f64 v[190:191], v[74:75], s[50:51]
	v_add_f64 v[192:193], v[192:193], v[198:199]
	v_fma_f64 v[198:199], v[6:7], s[14:15], v[196:197]
	v_add_f64 v[86:87], v[86:87], v[194:195]
	v_fma_f64 v[194:195], v[4:5], s[14:15], -v[190:191]
	v_fma_f64 v[190:191], v[4:5], s[14:15], v[190:191]
	v_fma_f64 v[196:197], v[6:7], s[14:15], -v[196:197]
	v_add_f64 v[198:199], v[198:199], v[208:209]
	v_add_f64 v[194:195], v[194:195], v[204:205]
	;; [unrolled: 1-line block ×3, first 2 shown]
	v_mul_f64 v[200:201], v[74:75], s[28:29]
	v_add_f64 v[196:197], v[196:197], v[206:207]
	v_mul_f64 v[206:207], v[72:73], s[28:29]
	v_fma_f64 v[204:205], v[4:5], s[30:31], -v[200:201]
	v_fma_f64 v[200:201], v[4:5], s[30:31], v[200:201]
	v_fma_f64 v[208:209], v[6:7], s[30:31], v[206:207]
	v_fma_f64 v[206:207], v[6:7], s[30:31], -v[206:207]
	v_add_f64 v[204:205], v[204:205], v[212:213]
	v_add_f64 v[200:201], v[200:201], v[210:211]
	v_mul_f64 v[210:211], v[74:75], s[58:59]
	v_mul_f64 v[74:75], v[74:75], s[48:49]
	v_add_f64 v[206:207], v[206:207], v[214:215]
	v_mul_f64 v[214:215], v[72:73], s[58:59]
	v_mul_f64 v[72:73], v[72:73], s[48:49]
	v_add_f64 v[208:209], v[208:209], v[216:217]
	v_fma_f64 v[212:213], v[4:5], s[24:25], -v[210:211]
	v_fma_f64 v[210:211], v[4:5], s[24:25], v[210:211]
	v_fma_f64 v[216:217], v[6:7], s[24:25], v[214:215]
	v_fma_f64 v[214:215], v[6:7], s[24:25], -v[214:215]
	v_add_f64 v[212:213], v[212:213], v[220:221]
	v_add_f64 v[210:211], v[210:211], v[218:219]
	v_fma_f64 v[218:219], v[4:5], s[16:17], -v[74:75]
	v_fma_f64 v[4:5], v[4:5], s[16:17], v[74:75]
	v_add_f64 v[74:75], v[112:113], -v[184:185]
	v_fma_f64 v[220:221], v[6:7], s[16:17], v[72:73]
	v_add_f64 v[214:215], v[214:215], v[222:223]
	v_add_f64 v[216:217], v[216:217], v[225:226]
	;; [unrolled: 1-line block ×4, first 2 shown]
	v_fma_f64 v[4:5], v[6:7], s[16:17], -v[72:73]
	v_add_f64 v[6:7], v[112:113], v[184:185]
	v_mul_f64 v[112:113], v[74:75], s[18:19]
	v_add_f64 v[72:73], v[114:115], -v[186:187]
	v_add_f64 v[220:221], v[220:221], v[229:230]
	v_add_f64 v[0:1], v[4:5], v[0:1]
	;; [unrolled: 1-line block ×3, first 2 shown]
	v_fma_f64 v[114:115], v[4:5], s[20:21], -v[112:113]
	v_fma_f64 v[112:113], v[4:5], s[20:21], v[112:113]
	v_add_f64 v[10:11], v[114:115], v[10:11]
	v_mul_f64 v[114:115], v[72:73], s[18:19]
	v_add_f64 v[8:9], v[112:113], v[8:9]
	v_fma_f64 v[112:113], v[6:7], s[20:21], -v[114:115]
	v_fma_f64 v[184:185], v[6:7], s[20:21], v[114:115]
	v_add_f64 v[12:13], v[112:113], v[12:13]
	v_mul_f64 v[112:113], v[74:75], s[56:57]
	v_add_f64 v[14:15], v[184:185], v[14:15]
	;; [unrolled: 5-line block ×6, first 2 shown]
	v_mul_f64 v[188:189], v[72:73], s[38:39]
	v_fma_f64 v[114:115], v[4:5], s[14:15], -v[112:113]
	v_fma_f64 v[112:113], v[4:5], s[14:15], v[112:113]
	v_add_f64 v[114:115], v[114:115], v[116:117]
	v_mul_f64 v[116:117], v[72:73], s[50:51]
	v_add_f64 v[84:85], v[112:113], v[84:85]
	v_fma_f64 v[112:113], v[6:7], s[14:15], -v[116:117]
	v_fma_f64 v[186:187], v[6:7], s[14:15], v[116:117]
	v_add_f64 v[86:87], v[112:113], v[86:87]
	v_mul_f64 v[112:113], v[74:75], s[38:39]
	v_add_f64 v[186:187], v[186:187], v[192:193]
	v_fma_f64 v[192:193], v[6:7], s[36:37], v[188:189]
	v_fma_f64 v[188:189], v[6:7], s[36:37], -v[188:189]
	v_fma_f64 v[116:117], v[4:5], s[36:37], -v[112:113]
	v_fma_f64 v[112:113], v[4:5], s[36:37], v[112:113]
	v_add_f64 v[192:193], v[192:193], v[198:199]
	v_add_f64 v[188:189], v[188:189], v[196:197]
	v_mul_f64 v[196:197], v[72:73], s[54:55]
	v_add_f64 v[116:117], v[116:117], v[194:195]
	v_add_f64 v[112:113], v[112:113], v[190:191]
	v_mul_f64 v[190:191], v[74:75], s[54:55]
	v_fma_f64 v[198:199], v[6:7], s[0:1], v[196:197]
	v_fma_f64 v[196:197], v[6:7], s[0:1], -v[196:197]
	v_fma_f64 v[194:195], v[4:5], s[0:1], -v[190:191]
	v_fma_f64 v[190:191], v[4:5], s[0:1], v[190:191]
	v_add_f64 v[198:199], v[198:199], v[208:209]
	v_add_f64 v[196:197], v[196:197], v[206:207]
	v_mul_f64 v[206:207], v[72:73], s[34:35]
	v_mul_f64 v[72:73], v[72:73], s[26:27]
	v_add_f64 v[194:195], v[194:195], v[204:205]
	v_add_f64 v[190:191], v[190:191], v[200:201]
	v_mul_f64 v[200:201], v[74:75], s[34:35]
	v_mul_f64 v[74:75], v[74:75], s[26:27]
	v_fma_f64 v[208:209], v[6:7], s[22:23], v[206:207]
	v_fma_f64 v[206:207], v[6:7], s[22:23], -v[206:207]
	v_fma_f64 v[204:205], v[4:5], s[22:23], -v[200:201]
	v_fma_f64 v[200:201], v[4:5], s[22:23], v[200:201]
	v_add_f64 v[208:209], v[208:209], v[216:217]
	v_add_f64 v[206:207], v[206:207], v[214:215]
	v_add_f64 v[216:217], v[90:91], -v[94:95]
	v_add_f64 v[204:205], v[204:205], v[212:213]
	v_add_f64 v[200:201], v[200:201], v[210:211]
	v_fma_f64 v[210:211], v[4:5], s[24:25], -v[74:75]
	v_fma_f64 v[4:5], v[4:5], s[24:25], v[74:75]
	v_add_f64 v[74:75], v[104:105], -v[108:109]
	v_fma_f64 v[212:213], v[6:7], s[24:25], v[72:73]
	v_add_f64 v[210:211], v[210:211], v[218:219]
	v_add_f64 v[2:3], v[4:5], v[2:3]
	v_fma_f64 v[4:5], v[6:7], s[24:25], -v[72:73]
	v_add_f64 v[6:7], v[104:105], v[108:109]
	v_mul_f64 v[104:105], v[74:75], s[26:27]
	v_add_f64 v[72:73], v[106:107], -v[110:111]
	v_add_f64 v[212:213], v[212:213], v[220:221]
	v_add_f64 v[218:219], v[88:89], -v[92:93]
	v_add_f64 v[0:1], v[4:5], v[0:1]
	v_add_f64 v[4:5], v[106:107], v[110:111]
	v_fma_f64 v[106:107], v[4:5], s[24:25], -v[104:105]
	v_fma_f64 v[104:105], v[4:5], s[24:25], v[104:105]
	v_add_f64 v[10:11], v[106:107], v[10:11]
	v_mul_f64 v[106:107], v[72:73], s[26:27]
	v_add_f64 v[8:9], v[104:105], v[8:9]
	v_fma_f64 v[104:105], v[6:7], s[24:25], -v[106:107]
	v_fma_f64 v[108:109], v[6:7], s[24:25], v[106:107]
	v_add_f64 v[12:13], v[104:105], v[12:13]
	v_mul_f64 v[104:105], v[74:75], s[52:53]
	v_add_f64 v[14:15], v[108:109], v[14:15]
	v_fma_f64 v[106:107], v[4:5], s[20:21], -v[104:105]
	v_fma_f64 v[104:105], v[4:5], s[20:21], v[104:105]
	v_add_f64 v[18:19], v[106:107], v[18:19]
	v_mul_f64 v[106:107], v[72:73], s[52:53]
	v_add_f64 v[16:17], v[104:105], v[16:17]
	v_fma_f64 v[104:105], v[6:7], s[20:21], -v[106:107]
	v_fma_f64 v[108:109], v[6:7], s[20:21], v[106:107]
	v_add_f64 v[76:77], v[104:105], v[76:77]
	v_mul_f64 v[104:105], v[74:75], s[34:35]
	v_add_f64 v[108:109], v[108:109], v[118:119]
	v_fma_f64 v[106:107], v[4:5], s[22:23], -v[104:105]
	v_fma_f64 v[104:105], v[4:5], s[22:23], v[104:105]
	v_add_f64 v[82:83], v[106:107], v[82:83]
	v_mul_f64 v[106:107], v[72:73], s[34:35]
	v_add_f64 v[78:79], v[104:105], v[78:79]
	v_fma_f64 v[104:105], v[6:7], s[22:23], -v[106:107]
	v_fma_f64 v[110:111], v[6:7], s[22:23], v[106:107]
	v_add_f64 v[80:81], v[104:105], v[80:81]
	v_mul_f64 v[104:105], v[74:75], s[28:29]
	v_add_f64 v[110:111], v[110:111], v[184:185]
	v_fma_f64 v[106:107], v[4:5], s[30:31], -v[104:105]
	v_fma_f64 v[104:105], v[4:5], s[30:31], v[104:105]
	v_add_f64 v[106:107], v[106:107], v[114:115]
	v_mul_f64 v[114:115], v[72:73], s[28:29]
	v_add_f64 v[84:85], v[104:105], v[84:85]
	v_fma_f64 v[104:105], v[6:7], s[30:31], -v[114:115]
	v_fma_f64 v[118:119], v[6:7], s[30:31], v[114:115]
	v_add_f64 v[86:87], v[104:105], v[86:87]
	v_mul_f64 v[104:105], v[74:75], s[54:55]
	v_add_f64 v[118:119], v[118:119], v[186:187]
	v_fma_f64 v[114:115], v[4:5], s[0:1], -v[104:105]
	v_fma_f64 v[104:105], v[4:5], s[0:1], v[104:105]
	v_add_f64 v[114:115], v[114:115], v[116:117]
	v_mul_f64 v[116:117], v[72:73], s[54:55]
	v_add_f64 v[104:105], v[104:105], v[112:113]
	v_fma_f64 v[184:185], v[6:7], s[0:1], v[116:117]
	v_fma_f64 v[112:113], v[6:7], s[0:1], -v[116:117]
	v_mul_f64 v[116:117], v[74:75], s[44:45]
	v_add_f64 v[184:185], v[184:185], v[192:193]
	v_add_f64 v[112:113], v[112:113], v[188:189]
	v_fma_f64 v[186:187], v[4:5], s[16:17], -v[116:117]
	v_fma_f64 v[116:117], v[4:5], s[16:17], v[116:117]
	v_mul_f64 v[188:189], v[72:73], s[44:45]
	v_add_f64 v[186:187], v[186:187], v[194:195]
	v_add_f64 v[116:117], v[116:117], v[190:191]
	v_mul_f64 v[190:191], v[74:75], s[38:39]
	v_fma_f64 v[192:193], v[6:7], s[16:17], v[188:189]
	v_fma_f64 v[188:189], v[6:7], s[16:17], -v[188:189]
	v_mul_f64 v[74:75], v[74:75], s[40:41]
	v_fma_f64 v[194:195], v[4:5], s[36:37], -v[190:191]
	v_fma_f64 v[190:191], v[4:5], s[36:37], v[190:191]
	v_add_f64 v[188:189], v[188:189], v[196:197]
	v_mul_f64 v[196:197], v[72:73], s[38:39]
	v_mul_f64 v[72:73], v[72:73], s[40:41]
	v_add_f64 v[192:193], v[192:193], v[198:199]
	v_add_f64 v[194:195], v[194:195], v[204:205]
	;; [unrolled: 1-line block ×3, first 2 shown]
	v_fma_f64 v[200:201], v[4:5], s[14:15], -v[74:75]
	v_fma_f64 v[4:5], v[4:5], s[14:15], v[74:75]
	v_add_f64 v[74:75], v[96:97], -v[100:101]
	v_fma_f64 v[198:199], v[6:7], s[36:37], v[196:197]
	v_fma_f64 v[196:197], v[6:7], s[36:37], -v[196:197]
	v_fma_f64 v[204:205], v[6:7], s[14:15], v[72:73]
	v_add_f64 v[200:201], v[200:201], v[210:211]
	v_add_f64 v[2:3], v[4:5], v[2:3]
	v_fma_f64 v[4:5], v[6:7], s[14:15], -v[72:73]
	v_add_f64 v[6:7], v[96:97], v[100:101]
	v_mul_f64 v[96:97], v[74:75], s[28:29]
	v_add_f64 v[72:73], v[98:99], -v[102:103]
	v_add_f64 v[196:197], v[196:197], v[206:207]
	v_add_f64 v[198:199], v[198:199], v[208:209]
	;; [unrolled: 1-line block ×5, first 2 shown]
	v_fma_f64 v[98:99], v[4:5], s[30:31], -v[96:97]
	v_fma_f64 v[96:97], v[4:5], s[30:31], v[96:97]
	v_add_f64 v[10:11], v[98:99], v[10:11]
	v_mul_f64 v[98:99], v[72:73], s[28:29]
	v_add_f64 v[8:9], v[96:97], v[8:9]
	v_fma_f64 v[96:97], v[6:7], s[30:31], -v[98:99]
	v_fma_f64 v[100:101], v[6:7], s[30:31], v[98:99]
	v_add_f64 v[12:13], v[96:97], v[12:13]
	v_mul_f64 v[96:97], v[74:75], s[40:41]
	v_add_f64 v[14:15], v[100:101], v[14:15]
	v_fma_f64 v[98:99], v[4:5], s[14:15], -v[96:97]
	v_fma_f64 v[96:97], v[4:5], s[14:15], v[96:97]
	v_add_f64 v[18:19], v[98:99], v[18:19]
	v_mul_f64 v[98:99], v[72:73], s[40:41]
	v_add_f64 v[16:17], v[96:97], v[16:17]
	v_fma_f64 v[96:97], v[6:7], s[14:15], -v[98:99]
	v_fma_f64 v[100:101], v[6:7], s[14:15], v[98:99]
	v_add_f64 v[96:97], v[96:97], v[76:77]
	v_mul_f64 v[76:77], v[74:75], s[42:43]
	v_add_f64 v[100:101], v[100:101], v[108:109]
	v_fma_f64 v[98:99], v[4:5], s[0:1], -v[76:77]
	v_fma_f64 v[76:77], v[4:5], s[0:1], v[76:77]
	v_add_f64 v[82:83], v[98:99], v[82:83]
	v_mul_f64 v[98:99], v[72:73], s[42:43]
	v_add_f64 v[108:109], v[76:77], v[78:79]
	v_fma_f64 v[76:77], v[6:7], s[0:1], -v[98:99]
	v_fma_f64 v[102:103], v[6:7], s[0:1], v[98:99]
	v_add_f64 v[98:99], v[76:77], v[80:81]
	v_mul_f64 v[76:77], v[74:75], s[58:59]
	v_add_f64 v[102:103], v[102:103], v[110:111]
	v_fma_f64 v[78:79], v[4:5], s[24:25], -v[76:77]
	v_fma_f64 v[76:77], v[4:5], s[24:25], v[76:77]
	v_add_f64 v[106:107], v[78:79], v[106:107]
	v_mul_f64 v[78:79], v[72:73], s[58:59]
	v_add_f64 v[206:207], v[76:77], v[84:85]
	v_fma_f64 v[76:77], v[6:7], s[24:25], -v[78:79]
	v_fma_f64 v[80:81], v[6:7], s[24:25], v[78:79]
	v_add_f64 v[208:209], v[76:77], v[86:87]
	v_mul_f64 v[76:77], v[74:75], s[34:35]
	v_add_f64 v[110:111], v[80:81], v[118:119]
	v_fma_f64 v[78:79], v[4:5], s[22:23], -v[76:77]
	v_fma_f64 v[76:77], v[4:5], s[22:23], v[76:77]
	v_add_f64 v[114:115], v[78:79], v[114:115]
	v_mul_f64 v[78:79], v[72:73], s[34:35]
	v_add_f64 v[104:105], v[76:77], v[104:105]
	v_fma_f64 v[76:77], v[6:7], s[22:23], -v[78:79]
	v_fma_f64 v[80:81], v[6:7], s[22:23], v[78:79]
	v_add_f64 v[112:113], v[76:77], v[112:113]
	v_mul_f64 v[76:77], v[74:75], s[38:39]
	v_add_f64 v[210:211], v[80:81], v[184:185]
	v_fma_f64 v[78:79], v[4:5], s[36:37], -v[76:77]
	v_fma_f64 v[76:77], v[4:5], s[36:37], v[76:77]
	v_add_f64 v[212:213], v[78:79], v[186:187]
	v_mul_f64 v[78:79], v[72:73], s[38:39]
	v_add_f64 v[214:215], v[76:77], v[116:117]
	v_fma_f64 v[76:77], v[6:7], s[36:37], -v[78:79]
	v_fma_f64 v[80:81], v[6:7], s[36:37], v[78:79]
	v_add_f64 v[188:189], v[76:77], v[188:189]
	v_mul_f64 v[76:77], v[74:75], s[48:49]
	v_mul_f64 v[74:75], v[74:75], s[18:19]
	v_add_f64 v[192:193], v[80:81], v[192:193]
	v_fma_f64 v[78:79], v[4:5], s[16:17], -v[76:77]
	v_fma_f64 v[76:77], v[4:5], s[16:17], v[76:77]
	v_add_f64 v[194:195], v[78:79], v[194:195]
	v_mul_f64 v[78:79], v[72:73], s[48:49]
	v_add_f64 v[190:191], v[76:77], v[190:191]
	v_mul_f64 v[72:73], v[72:73], s[18:19]
	v_fma_f64 v[76:77], v[6:7], s[16:17], -v[78:79]
	v_fma_f64 v[80:81], v[6:7], s[16:17], v[78:79]
	v_add_f64 v[196:197], v[76:77], v[196:197]
	v_fma_f64 v[76:77], v[4:5], s[20:21], -v[74:75]
	v_fma_f64 v[4:5], v[4:5], s[20:21], v[74:75]
	v_add_f64 v[198:199], v[80:81], v[198:199]
	v_add_f64 v[200:201], v[76:77], v[200:201]
	v_fma_f64 v[76:77], v[6:7], s[20:21], v[72:73]
	v_add_f64 v[2:3], v[4:5], v[2:3]
	v_fma_f64 v[4:5], v[6:7], s[20:21], -v[72:73]
	v_add_f64 v[6:7], v[88:89], v[92:93]
	v_add_f64 v[204:205], v[76:77], v[204:205]
	v_mul_f64 v[76:77], v[218:219], s[38:39]
	v_add_f64 v[0:1], v[4:5], v[0:1]
	v_add_f64 v[4:5], v[90:91], v[94:95]
	v_fma_f64 v[72:73], v[4:5], s[36:37], -v[76:77]
	v_add_f64 v[72:73], v[72:73], v[10:11]
	v_mul_f64 v[10:11], v[216:217], s[38:39]
	v_fma_f64 v[74:75], v[6:7], s[36:37], v[10:11]
	v_add_f64 v[74:75], v[74:75], v[14:15]
	v_fma_f64 v[14:15], v[4:5], s[36:37], v[76:77]
	v_add_f64 v[116:117], v[14:15], v[8:9]
	v_fma_f64 v[8:9], v[6:7], s[36:37], -v[10:11]
	v_add_f64 v[118:119], v[8:9], v[12:13]
	v_mul_f64 v[8:9], v[218:219], s[46:47]
	v_fma_f64 v[10:11], v[4:5], s[22:23], -v[8:9]
	v_fma_f64 v[8:9], v[4:5], s[22:23], v[8:9]
	v_add_f64 v[76:77], v[10:11], v[18:19]
	v_mul_f64 v[10:11], v[216:217], s[46:47]
	v_add_f64 v[184:185], v[8:9], v[16:17]
	v_fma_f64 v[8:9], v[6:7], s[22:23], -v[10:11]
	v_fma_f64 v[12:13], v[6:7], s[22:23], v[10:11]
	v_add_f64 v[186:187], v[8:9], v[96:97]
	v_mul_f64 v[8:9], v[218:219], s[28:29]
	v_add_f64 v[78:79], v[12:13], v[100:101]
	;; [unrolled: 5-line block ×6, first 2 shown]
                                        ; implicit-def: $vgpr208_vgpr209
	v_fma_f64 v[10:11], v[4:5], s[24:25], -v[8:9]
	v_fma_f64 v[8:9], v[4:5], s[24:25], v[8:9]
	v_add_f64 v[96:97], v[10:11], v[114:115]
	v_mul_f64 v[10:11], v[216:217], s[26:27]
	v_add_f64 v[100:101], v[8:9], v[104:105]
	v_fma_f64 v[8:9], v[6:7], s[24:25], -v[10:11]
	v_fma_f64 v[12:13], v[6:7], s[24:25], v[10:11]
	v_add_f64 v[102:103], v[8:9], v[112:113]
	v_mul_f64 v[8:9], v[218:219], s[40:41]
	v_add_f64 v[98:99], v[12:13], v[210:211]
	;; [unrolled: 5-line block ×7, first 2 shown]
	v_fma_f64 v[2:3], v[6:7], s[0:1], -v[10:11]
	v_fma_f64 v[12:13], v[6:7], s[0:1], v[10:11]
	v_cmp_gt_u16_e64 s[0:1], 34, v250
	v_add_f64 v[198:199], v[2:3], v[0:1]
	v_mul_u32_u24_e32 v0, 0x121, v202
	v_add_f64 v[194:195], v[12:13], v[204:205]
	v_add_lshl_u32 v251, v0, v203, 4
	ds_write_b128 v251, v[68:71]
	ds_write_b128 v251, v[72:75] offset:272
	ds_write_b128 v251, v[76:79] offset:544
	ds_write_b128 v251, v[80:83] offset:816
	ds_write_b128 v251, v[88:91] offset:1088
	ds_write_b128 v251, v[96:99] offset:1360
	ds_write_b128 v251, v[104:107] offset:1632
	ds_write_b128 v251, v[112:115] offset:1904
	ds_write_b128 v251, v[192:195] offset:2176
	ds_write_b128 v251, v[196:199] offset:2448
	ds_write_b128 v251, v[188:191] offset:2720
	ds_write_b128 v251, v[108:111] offset:2992
	ds_write_b128 v251, v[100:103] offset:3264
	ds_write_b128 v251, v[92:95] offset:3536
	ds_write_b128 v251, v[84:87] offset:3808
	ds_write_b128 v251, v[184:187] offset:4080
	ds_write_b128 v251, v[116:119] offset:4352
	s_waitcnt lgkmcnt(0)
	; wave barrier
	s_waitcnt lgkmcnt(0)
	ds_read_b128 v[204:207], v249
	ds_read_b128 v[88:91], v249 offset:4624
	ds_read_b128 v[84:87], v249 offset:9248
	;; [unrolled: 1-line block ×14, first 2 shown]
	s_and_saveexec_b64 s[14:15], s[0:1]
	s_cbranch_execz .LBB0_3
; %bb.2:
	ds_read_b128 v[184:187], v249 offset:4080
	ds_read_b128 v[116:119], v249 offset:8704
	;; [unrolled: 1-line block ×3, first 2 shown]
.LBB0_3:
	s_or_b64 exec, exec, s[14:15]
	v_lshlrev_b32_e32 v28, 5, v250
	v_add_co_u32_e32 v30, vcc, 0xff, v250
	v_addc_co_u32_e64 v31, s[14:15], 0, 0, vcc
	v_add_co_u32_e32 v2, vcc, s10, v28
	v_mov_b32_e32 v32, s11
	v_addc_co_u32_e32 v3, vcc, 0, v32, vcc
	s_movk_i32 s11, 0x1100
	v_add_co_u32_e32 v0, vcc, s11, v2
	v_addc_co_u32_e32 v1, vcc, 0, v3, vcc
	v_add_co_u32_e32 v2, vcc, s8, v2
	v_addc_co_u32_e32 v3, vcc, 0, v3, vcc
	global_load_dwordx4 v[76:79], v[2:3], off offset:256
	global_load_dwordx4 v[80:83], v[0:1], off offset:16
	v_add_u32_e32 v8, 0x660, v28
	v_add_co_u32_e32 v10, vcc, s10, v8
	v_addc_co_u32_e32 v11, vcc, 0, v32, vcc
	v_add_co_u32_e32 v8, vcc, s11, v10
	v_addc_co_u32_e32 v9, vcc, 0, v11, vcc
	;; [unrolled: 2-line block ×3, first 2 shown]
	v_add_u32_e32 v16, 0xcc0, v28
	v_add_co_u32_e32 v18, vcc, s10, v16
	v_addc_co_u32_e32 v19, vcc, 0, v32, vcc
	v_add_co_u32_e32 v16, vcc, s11, v18
	v_addc_co_u32_e32 v17, vcc, 0, v19, vcc
	;; [unrolled: 2-line block ×3, first 2 shown]
	v_add_u32_e32 v20, 0x1320, v28
	v_add_co_u32_e32 v20, vcc, s10, v20
	v_addc_co_u32_e32 v21, vcc, 0, v32, vcc
	v_add_u32_e32 v28, 0x1980, v28
	s_movk_i32 s14, 0xffde
	s_waitcnt vmcnt(1) lgkmcnt(13)
	v_mul_f64 v[0:1], v[90:91], v[78:79]
	v_mul_f64 v[2:3], v[88:89], v[78:79]
	s_waitcnt vmcnt(0) lgkmcnt(12)
	v_mul_f64 v[4:5], v[86:87], v[82:83]
	v_mul_f64 v[6:7], v[84:85], v[82:83]
	v_fma_f64 v[0:1], v[88:89], v[76:77], -v[0:1]
	v_fma_f64 v[2:3], v[90:91], v[76:77], v[2:3]
	v_fma_f64 v[4:5], v[84:85], v[80:81], -v[4:5]
	v_fma_f64 v[6:7], v[86:87], v[80:81], v[6:7]
	global_load_dwordx4 v[88:91], v[10:11], off offset:256
	global_load_dwordx4 v[84:87], v[8:9], off offset:16
	s_waitcnt vmcnt(1) lgkmcnt(10)
	v_mul_f64 v[8:9], v[98:99], v[90:91]
	v_mul_f64 v[10:11], v[96:97], v[90:91]
	s_waitcnt vmcnt(0) lgkmcnt(9)
	v_mul_f64 v[12:13], v[94:95], v[86:87]
	v_mul_f64 v[14:15], v[92:93], v[86:87]
	v_fma_f64 v[8:9], v[96:97], v[88:89], -v[8:9]
	v_fma_f64 v[10:11], v[98:99], v[88:89], v[10:11]
	v_fma_f64 v[12:13], v[92:93], v[84:85], -v[12:13]
	v_fma_f64 v[14:15], v[94:95], v[84:85], v[14:15]
	global_load_dwordx4 v[92:95], v[18:19], off offset:256
	global_load_dwordx4 v[96:99], v[16:17], off offset:16
	s_waitcnt vmcnt(1) lgkmcnt(7)
	v_mul_f64 v[16:17], v[106:107], v[94:95]
	v_mul_f64 v[18:19], v[104:105], v[94:95]
	v_fma_f64 v[16:17], v[104:105], v[92:93], -v[16:17]
	s_waitcnt vmcnt(0) lgkmcnt(6)
	v_mul_f64 v[104:105], v[102:103], v[98:99]
	v_fma_f64 v[18:19], v[106:107], v[92:93], v[18:19]
	v_fma_f64 v[247:248], v[100:101], v[96:97], -v[104:105]
	v_mul_f64 v[100:101], v[100:101], v[98:99]
	v_fma_f64 v[254:255], v[102:103], v[96:97], v[100:101]
	v_add_co_u32_e32 v100, vcc, s11, v20
	v_addc_co_u32_e32 v101, vcc, 0, v21, vcc
	v_add_co_u32_e32 v102, vcc, s8, v20
	v_addc_co_u32_e32 v103, vcc, 0, v21, vcc
	global_load_dwordx4 v[104:107], v[102:103], off offset:256
	s_nop 0
	global_load_dwordx4 v[100:103], v[100:101], off offset:16
	v_add_co_u32_e32 v28, vcc, s10, v28
	v_addc_co_u32_e32 v29, vcc, 0, v32, vcc
	s_waitcnt vmcnt(1) lgkmcnt(4)
	v_mul_f64 v[212:213], v[114:115], v[106:107]
	v_mul_f64 v[22:23], v[112:113], v[106:107]
	s_waitcnt vmcnt(0) lgkmcnt(3)
	v_mul_f64 v[26:27], v[108:109], v[102:103]
	v_fma_f64 v[20:21], v[112:113], v[104:105], -v[212:213]
	v_mul_f64 v[112:113], v[110:111], v[102:103]
	v_fma_f64 v[22:23], v[114:115], v[104:105], v[22:23]
	v_fma_f64 v[26:27], v[110:111], v[100:101], v[26:27]
	v_fma_f64 v[24:25], v[108:109], v[100:101], -v[112:113]
	v_add_co_u32_e32 v112, vcc, s11, v28
	v_addc_co_u32_e32 v113, vcc, 0, v29, vcc
	v_add_co_u32_e32 v108, vcc, s8, v28
	v_addc_co_u32_e32 v109, vcc, 0, v29, vcc
	global_load_dwordx4 v[108:111], v[108:109], off offset:256
	s_nop 0
	global_load_dwordx4 v[112:115], v[112:113], off offset:16
	v_add_co_u32_e32 v33, vcc, s14, v250
	v_addc_co_u32_e64 v34, s[14:15], 0, -1, vcc
	v_cndmask_b32_e64 v31, v34, v31, s[0:1]
	v_cndmask_b32_e64 v30, v33, v30, s[0:1]
	v_lshlrev_b64 v[30:31], 5, v[30:31]
	s_mov_b32 s15, 0xbfebb67a
	v_add_co_u32_e32 v33, vcc, s10, v30
	v_addc_co_u32_e32 v32, vcc, v32, v31, vcc
	v_add_co_u32_e32 v30, vcc, s11, v33
	v_addc_co_u32_e32 v31, vcc, 0, v32, vcc
	s_mov_b32 s10, 0xe8584caa
	s_mov_b32 s11, 0x3febb67a
	;; [unrolled: 1-line block ×3, first 2 shown]
	s_waitcnt vmcnt(1) lgkmcnt(1)
	v_mul_f64 v[212:213], v[74:75], v[110:111]
	v_fma_f64 v[212:213], v[72:73], v[108:109], -v[212:213]
	v_mul_f64 v[72:73], v[72:73], v[110:111]
	v_fma_f64 v[218:219], v[74:75], v[108:109], v[72:73]
	s_waitcnt vmcnt(0) lgkmcnt(0)
	v_mul_f64 v[72:73], v[70:71], v[114:115]
	v_fma_f64 v[220:221], v[68:69], v[112:113], -v[72:73]
	v_mul_f64 v[68:69], v[68:69], v[114:115]
	v_fma_f64 v[28:29], v[70:71], v[112:113], v[68:69]
	v_add_co_u32_e32 v68, vcc, s8, v33
	v_addc_co_u32_e32 v69, vcc, 0, v32, vcc
	global_load_dwordx4 v[68:71], v[68:69], off offset:256
	s_nop 0
	global_load_dwordx4 v[72:75], v[30:31], off offset:16
	s_waitcnt vmcnt(1)
	v_mul_f64 v[30:31], v[118:119], v[70:71]
	v_fma_f64 v[214:215], v[116:117], v[68:69], -v[30:31]
	v_mul_f64 v[30:31], v[116:117], v[70:71]
	v_add_f64 v[116:117], v[2:3], -v[6:7]
	v_fma_f64 v[222:223], v[118:119], v[68:69], v[30:31]
	s_waitcnt vmcnt(0)
	v_mul_f64 v[30:31], v[210:211], v[74:75]
	v_fma_f64 v[216:217], v[208:209], v[72:73], -v[30:31]
	v_mul_f64 v[30:31], v[208:209], v[74:75]
	v_fma_f64 v[208:209], v[210:211], v[72:73], v[30:31]
	v_add_f64 v[30:31], v[204:205], v[0:1]
	v_add_f64 v[225:226], v[30:31], v[4:5]
	;; [unrolled: 1-line block ×3, first 2 shown]
	v_add_f64 v[0:1], v[0:1], -v[4:5]
	v_fma_f64 v[30:31], v[30:31], -0.5, v[204:205]
	v_fma_f64 v[204:205], v[116:117], s[10:11], v[30:31]
	v_fma_f64 v[229:230], v[116:117], s[14:15], v[30:31]
	v_add_f64 v[30:31], v[206:207], v[2:3]
	v_add_f64 v[2:3], v[2:3], v[6:7]
	;; [unrolled: 1-line block ×3, first 2 shown]
	v_fma_f64 v[2:3], v[2:3], -0.5, v[206:207]
	v_add_f64 v[6:7], v[22:23], -v[26:27]
	v_fma_f64 v[206:207], v[0:1], s[14:15], v[2:3]
	v_fma_f64 v[231:232], v[0:1], s[10:11], v[2:3]
	v_add_f64 v[0:1], v[200:201], v[8:9]
	v_add_f64 v[2:3], v[10:11], -v[14:15]
	v_add_f64 v[233:234], v[0:1], v[12:13]
	v_add_f64 v[0:1], v[8:9], v[12:13]
	v_fma_f64 v[0:1], v[0:1], -0.5, v[200:201]
	v_fma_f64 v[200:201], v[2:3], s[10:11], v[0:1]
	v_fma_f64 v[237:238], v[2:3], s[14:15], v[0:1]
	v_add_f64 v[0:1], v[202:203], v[10:11]
	v_add_f64 v[2:3], v[8:9], -v[12:13]
	v_add_f64 v[12:13], v[20:21], -v[24:25]
	v_add_f64 v[235:236], v[0:1], v[14:15]
	v_add_f64 v[0:1], v[10:11], v[14:15]
	;; [unrolled: 1-line block ×3, first 2 shown]
	v_fma_f64 v[0:1], v[0:1], -0.5, v[202:203]
	v_fma_f64 v[14:15], v[14:15], -0.5, v[188:189]
	v_fma_f64 v[202:203], v[2:3], s[14:15], v[0:1]
	v_fma_f64 v[239:240], v[2:3], s[10:11], v[0:1]
	v_add_f64 v[0:1], v[196:197], v[16:17]
	v_add_f64 v[2:3], v[18:19], -v[254:255]
	v_add_f64 v[241:242], v[0:1], v[247:248]
	v_add_f64 v[0:1], v[16:17], v[247:248]
	v_fma_f64 v[0:1], v[0:1], -0.5, v[196:197]
	v_fma_f64 v[196:197], v[2:3], s[10:11], v[0:1]
	v_fma_f64 v[245:246], v[2:3], s[14:15], v[0:1]
	v_add_f64 v[0:1], v[198:199], v[18:19]
	v_add_f64 v[2:3], v[16:17], -v[247:248]
	v_add_f64 v[16:17], v[218:219], -v[28:29]
	v_add_f64 v[243:244], v[0:1], v[254:255]
	v_add_f64 v[0:1], v[18:19], v[254:255]
	;; [unrolled: 1-line block ×3, first 2 shown]
	v_fma_f64 v[210:211], v[16:17], s[10:11], v[14:15]
	v_fma_f64 v[16:17], v[16:17], s[14:15], v[14:15]
	v_add_f64 v[14:15], v[190:191], v[218:219]
	v_fma_f64 v[0:1], v[0:1], -0.5, v[198:199]
	v_fma_f64 v[18:19], v[18:19], -0.5, v[190:191]
	v_add_f64 v[190:191], v[222:223], -v[208:209]
	v_add_f64 v[14:15], v[14:15], v[28:29]
	v_fma_f64 v[198:199], v[2:3], s[14:15], v[0:1]
	v_fma_f64 v[247:248], v[2:3], s[10:11], v[0:1]
	v_add_f64 v[2:3], v[20:21], v[24:25]
	v_add_f64 v[0:1], v[192:193], v[20:21]
	v_add_f64 v[20:21], v[212:213], -v[220:221]
	v_fma_f64 v[2:3], v[2:3], -0.5, v[192:193]
	v_add_f64 v[0:1], v[0:1], v[24:25]
	v_fma_f64 v[4:5], v[6:7], s[10:11], v[2:3]
	v_fma_f64 v[8:9], v[6:7], s[14:15], v[2:3]
	v_add_f64 v[6:7], v[22:23], v[26:27]
	v_add_f64 v[2:3], v[194:195], v[22:23]
	v_fma_f64 v[10:11], v[6:7], -0.5, v[194:195]
	v_add_f64 v[194:195], v[214:215], -v[216:217]
	v_add_f64 v[2:3], v[2:3], v[26:27]
	v_fma_f64 v[6:7], v[12:13], s[14:15], v[10:11]
	v_fma_f64 v[10:11], v[12:13], s[10:11], v[10:11]
	v_add_f64 v[12:13], v[188:189], v[212:213]
	v_fma_f64 v[212:213], v[20:21], s[14:15], v[18:19]
	v_fma_f64 v[18:19], v[20:21], s[10:11], v[18:19]
	v_add_f64 v[20:21], v[214:215], v[216:217]
	v_add_f64 v[12:13], v[12:13], v[220:221]
	ds_write_b128 v249, v[225:228]
	ds_write_b128 v249, v[204:207] offset:4624
	ds_write_b128 v249, v[229:232] offset:9248
	;; [unrolled: 1-line block ×14, first 2 shown]
	v_fma_f64 v[188:189], v[20:21], -0.5, v[184:185]
	v_add_f64 v[20:21], v[222:223], v[208:209]
	v_fma_f64 v[116:117], v[190:191], s[14:15], v[188:189]
	v_fma_f64 v[192:193], v[20:21], -0.5, v[186:187]
	v_fma_f64 v[118:119], v[194:195], s[10:11], v[192:193]
	s_and_saveexec_b64 s[14:15], s[0:1]
	s_cbranch_execz .LBB0_5
; %bb.4:
	v_add_f64 v[4:5], v[186:187], v[222:223]
	v_add_f64 v[8:9], v[184:185], v[214:215]
	v_mul_f64 v[0:1], v[194:195], s[10:11]
	v_mul_f64 v[10:11], v[190:191], s[10:11]
	v_add_f64 v[6:7], v[4:5], v[208:209]
	v_add_f64 v[4:5], v[8:9], v[216:217]
	v_add_f64 v[2:3], v[192:193], -v[0:1]
	v_add_f64 v[0:1], v[10:11], v[188:189]
	ds_write_b128 v249, v[4:7] offset:4080
	ds_write_b128 v249, v[0:3] offset:8704
	;; [unrolled: 1-line block ×3, first 2 shown]
.LBB0_5:
	s_or_b64 exec, exec, s[14:15]
	v_mov_b32_e32 v0, s9
	v_addc_co_u32_e64 v184, vcc, 0, v0, s[2:3]
	s_movk_i32 s2, 0x3630
	v_add_co_u32_e32 v12, vcc, s2, v224
	v_addc_co_u32_e32 v13, vcc, 0, v184, vcc
	s_movk_i32 s2, 0x3000
	v_add_co_u32_e32 v4, vcc, s2, v224
	v_addc_co_u32_e32 v5, vcc, 0, v184, vcc
	s_waitcnt lgkmcnt(0)
	; wave barrier
	s_waitcnt lgkmcnt(0)
	global_load_dwordx4 v[4:7], v[4:5], off offset:1584
	ds_read_b128 v[0:3], v249
	s_movk_i32 s2, 0x4000
	s_mov_b32 s8, 0x3259b75e
	s_mov_b32 s26, 0x923c349f
	s_mov_b32 s9, 0x3fb79ee6
	s_mov_b32 s27, 0xbfeec746
	s_mov_b32 s30, 0xc61f0d01
	s_mov_b32 s40, 0x6c9a05f6
	s_mov_b32 s31, 0xbfd183b1
	s_mov_b32 s41, 0xbfe9895b
	s_mov_b32 s24, 0x5d8e7cdc
	s_mov_b32 s20, 0x2a9d6da3
	s_mov_b32 s16, 0x7c9e640b
	s_mov_b32 s42, 0x6ed5f1bb
	s_mov_b32 s46, 0x4363dd80
	s_mov_b32 s52, 0xacd6c6b4
	s_mov_b32 s25, 0xbfd71e95
	s_mov_b32 s21, 0xbfe58eea
	s_mov_b32 s17, 0xbfeca52d
	s_mov_b32 s43, 0xbfe348c8
	s_mov_b32 s47, 0xbfe0d888
	s_mov_b32 s53, 0xbfc7851a
	s_mov_b32 s28, 0x370991
	s_mov_b32 s22, 0x75d4884
	s_mov_b32 s14, 0x2b2883cd
	s_mov_b32 s48, 0x910ea3b9
	s_mov_b32 s54, 0x7faef3
	s_mov_b32 s29, 0x3fedd6d0
	s_mov_b32 s23, 0x3fe7a5f6
	s_mov_b32 s15, 0x3fdc86fa
	s_mov_b32 s49, 0xbfeb34fa
	s_mov_b32 s55, 0xbfef7484
	s_mov_b32 s35, 0x3fd71e95
	s_mov_b32 s34, s24
	s_mov_b32 s37, 0x3fe58eea
	s_mov_b32 s36, s20
	s_mov_b32 s19, 0x3feca52d
	s_mov_b32 s18, s16
	s_mov_b32 s11, 0x3fefdd0d
	s_mov_b32 s39, 0x3feec746
	s_mov_b32 s38, s26
	s_mov_b32 s45, 0x3fe9895b
	s_mov_b32 s44, s40
	s_mov_b32 s51, 0x3fe0d888
	s_mov_b32 s50, s46
	s_mov_b32 s57, 0x3fc7851a
	s_mov_b32 s56, s52
	s_waitcnt vmcnt(0) lgkmcnt(0)
	v_mul_f64 v[8:9], v[2:3], v[6:7]
	v_fma_f64 v[8:9], v[0:1], v[4:5], -v[8:9]
	v_mul_f64 v[0:1], v[0:1], v[6:7]
	v_fma_f64 v[10:11], v[2:3], v[4:5], v[0:1]
	global_load_dwordx4 v[4:7], v[12:13], off offset:816
	ds_read_b128 v[0:3], v249 offset:816
	ds_write_b128 v249, v[8:11]
	s_waitcnt vmcnt(0) lgkmcnt(1)
	v_mul_f64 v[8:9], v[2:3], v[6:7]
	v_fma_f64 v[8:9], v[0:1], v[4:5], -v[8:9]
	v_mul_f64 v[0:1], v[0:1], v[6:7]
	v_fma_f64 v[10:11], v[2:3], v[4:5], v[0:1]
	global_load_dwordx4 v[4:7], v[12:13], off offset:1632
	ds_read_b128 v[0:3], v249 offset:1632
	ds_write_b128 v249, v[8:11] offset:816
	s_waitcnt vmcnt(0) lgkmcnt(1)
	v_mul_f64 v[8:9], v[2:3], v[6:7]
	v_fma_f64 v[8:9], v[0:1], v[4:5], -v[8:9]
	v_mul_f64 v[0:1], v[0:1], v[6:7]
	v_fma_f64 v[10:11], v[2:3], v[4:5], v[0:1]
	global_load_dwordx4 v[4:7], v[12:13], off offset:2448
	ds_read_b128 v[0:3], v249 offset:2448
	ds_write_b128 v249, v[8:11] offset:1632
	;; [unrolled: 8-line block ×3, first 2 shown]
	s_waitcnt vmcnt(0) lgkmcnt(1)
	v_mul_f64 v[8:9], v[2:3], v[6:7]
	v_fma_f64 v[8:9], v[0:1], v[4:5], -v[8:9]
	v_mul_f64 v[0:1], v[0:1], v[6:7]
	v_fma_f64 v[10:11], v[2:3], v[4:5], v[0:1]
	global_load_dwordx4 v[4:7], v[12:13], off offset:4080
	ds_read_b128 v[0:3], v249 offset:4080
	v_add_co_u32_e32 v12, vcc, s2, v224
	v_addc_co_u32_e32 v13, vcc, 0, v184, vcc
	s_movk_i32 s2, 0x5000
	ds_write_b128 v249, v[8:11] offset:3264
	s_waitcnt vmcnt(0) lgkmcnt(1)
	v_mul_f64 v[8:9], v[2:3], v[6:7]
	v_fma_f64 v[8:9], v[0:1], v[4:5], -v[8:9]
	v_mul_f64 v[0:1], v[0:1], v[6:7]
	v_fma_f64 v[10:11], v[2:3], v[4:5], v[0:1]
	global_load_dwordx4 v[4:7], v[12:13], off offset:2384
	ds_read_b128 v[0:3], v249 offset:4896
	ds_write_b128 v249, v[8:11] offset:4080
	s_waitcnt vmcnt(0) lgkmcnt(1)
	v_mul_f64 v[8:9], v[2:3], v[6:7]
	v_fma_f64 v[8:9], v[0:1], v[4:5], -v[8:9]
	v_mul_f64 v[0:1], v[0:1], v[6:7]
	v_fma_f64 v[10:11], v[2:3], v[4:5], v[0:1]
	global_load_dwordx4 v[4:7], v[12:13], off offset:3200
	ds_read_b128 v[0:3], v249 offset:5712
	;; [unrolled: 8-line block ×3, first 2 shown]
	v_add_co_u32_e32 v12, vcc, s2, v224
	v_addc_co_u32_e32 v13, vcc, 0, v184, vcc
	s_movk_i32 s2, 0x6000
	ds_write_b128 v249, v[8:11] offset:5712
	s_waitcnt vmcnt(0) lgkmcnt(1)
	v_mul_f64 v[8:9], v[2:3], v[6:7]
	v_fma_f64 v[8:9], v[0:1], v[4:5], -v[8:9]
	v_mul_f64 v[0:1], v[0:1], v[6:7]
	v_fma_f64 v[10:11], v[2:3], v[4:5], v[0:1]
	global_load_dwordx4 v[4:7], v[12:13], off offset:736
	ds_read_b128 v[0:3], v249 offset:7344
	ds_write_b128 v249, v[8:11] offset:6528
	s_waitcnt vmcnt(0) lgkmcnt(1)
	v_mul_f64 v[8:9], v[2:3], v[6:7]
	v_fma_f64 v[8:9], v[0:1], v[4:5], -v[8:9]
	v_mul_f64 v[0:1], v[0:1], v[6:7]
	v_fma_f64 v[10:11], v[2:3], v[4:5], v[0:1]
	global_load_dwordx4 v[4:7], v[12:13], off offset:1552
	ds_read_b128 v[0:3], v249 offset:8160
	;; [unrolled: 8-line block ×5, first 2 shown]
	v_add_co_u32_e32 v12, vcc, s2, v224
	v_addc_co_u32_e32 v13, vcc, 0, v184, vcc
	s_mov_b32 s2, 0xeb564b22
	ds_write_b128 v249, v[8:11] offset:9792
	s_mov_b32 s3, 0xbfefdd0d
	s_mov_b32 s10, s2
	s_waitcnt vmcnt(0) lgkmcnt(1)
	v_mul_f64 v[8:9], v[2:3], v[6:7]
	v_fma_f64 v[8:9], v[0:1], v[4:5], -v[8:9]
	v_mul_f64 v[0:1], v[0:1], v[6:7]
	v_fma_f64 v[10:11], v[2:3], v[4:5], v[0:1]
	global_load_dwordx4 v[4:7], v[12:13], off offset:720
	ds_read_b128 v[0:3], v249 offset:11424
	ds_write_b128 v249, v[8:11] offset:10608
	s_waitcnt vmcnt(0) lgkmcnt(1)
	v_mul_f64 v[8:9], v[2:3], v[6:7]
	v_fma_f64 v[8:9], v[0:1], v[4:5], -v[8:9]
	v_mul_f64 v[0:1], v[0:1], v[6:7]
	v_fma_f64 v[10:11], v[2:3], v[4:5], v[0:1]
	global_load_dwordx4 v[4:7], v[12:13], off offset:1536
	ds_read_b128 v[0:3], v249 offset:12240
	ds_write_b128 v249, v[8:11] offset:11424
	;; [unrolled: 8-line block ×3, first 2 shown]
	s_waitcnt vmcnt(0) lgkmcnt(1)
	v_mul_f64 v[8:9], v[2:3], v[6:7]
	v_fma_f64 v[8:9], v[0:1], v[4:5], -v[8:9]
	v_mul_f64 v[0:1], v[0:1], v[6:7]
	v_fma_f64 v[10:11], v[2:3], v[4:5], v[0:1]
	ds_write_b128 v249, v[8:11] offset:13056
	s_waitcnt lgkmcnt(0)
	; wave barrier
	s_waitcnt lgkmcnt(0)
	ds_read_b128 v[244:247], v249
	ds_read_b128 v[0:3], v249 offset:816
	ds_read_b128 v[236:239], v249 offset:1632
	;; [unrolled: 1-line block ×16, first 2 shown]
	s_waitcnt lgkmcnt(14)
	v_add_f64 v[10:11], v[246:247], v[2:3]
	v_add_f64 v[8:9], v[244:245], v[0:1]
	s_waitcnt lgkmcnt(0)
	v_add_f64 v[66:67], v[236:237], -v[240:241]
	; wave barrier
	v_add_f64 v[10:11], v[10:11], v[238:239]
	v_add_f64 v[8:9], v[8:9], v[236:237]
	;; [unrolled: 1-line block ×30, first 2 shown]
	v_add_f64 v[2:3], v[2:3], -v[6:7]
	v_add_f64 v[184:185], v[8:9], v[4:5]
	v_add_f64 v[8:9], v[0:1], v[4:5]
	v_add_f64 v[0:1], v[0:1], -v[4:5]
	v_mul_f64 v[12:13], v[10:11], s[28:29]
	v_mul_f64 v[254:255], v[2:3], s[2:3]
	;; [unrolled: 1-line block ×9, first 2 shown]
	v_fma_f64 v[32:33], v[8:9], s[8:9], v[254:255]
	v_fma_f64 v[38:39], v[8:9], s[8:9], -v[254:255]
	v_mul_f64 v[254:255], v[2:3], s[26:27]
	v_fma_f64 v[6:7], v[8:9], s[28:29], v[4:5]
	v_fma_f64 v[4:5], v[8:9], s[28:29], -v[4:5]
	v_fma_f64 v[18:19], v[8:9], s[22:23], v[16:17]
	v_fma_f64 v[16:17], v[8:9], s[22:23], -v[16:17]
	;; [unrolled: 2-line block ×3, first 2 shown]
	v_mul_f64 v[50:51], v[10:11], s[42:43]
	v_fma_f64 v[40:41], v[8:9], s[30:31], v[254:255]
	v_fma_f64 v[46:47], v[8:9], s[30:31], -v[254:255]
	v_mul_f64 v[254:255], v[2:3], s[40:41]
	v_mul_f64 v[58:59], v[10:11], s[48:49]
	;; [unrolled: 1-line block ×3, first 2 shown]
	v_fma_f64 v[14:15], v[0:1], s[34:35], v[12:13]
	v_fma_f64 v[12:13], v[0:1], s[24:25], v[12:13]
	;; [unrolled: 1-line block ×6, first 2 shown]
	v_fma_f64 v[54:55], v[8:9], s[42:43], -v[254:255]
	v_mul_f64 v[254:255], v[2:3], s[46:47]
	v_mul_f64 v[2:3], v[2:3], s[52:53]
	v_fma_f64 v[28:29], v[0:1], s[16:17], v[28:29]
	v_fma_f64 v[36:37], v[0:1], s[10:11], v[34:35]
	;; [unrolled: 1-line block ×7, first 2 shown]
	v_fma_f64 v[62:63], v[8:9], s[48:49], -v[254:255]
	v_fma_f64 v[254:255], v[8:9], s[54:55], v[2:3]
	v_fma_f64 v[2:3], v[8:9], s[54:55], -v[2:3]
	v_add_f64 v[8:9], v[236:237], v[240:241]
	v_add_f64 v[236:237], v[238:239], -v[242:243]
	v_fma_f64 v[50:51], v[0:1], s[40:41], v[50:51]
	v_fma_f64 v[60:61], v[0:1], s[50:51], v[58:59]
	v_fma_f64 v[58:59], v[0:1], s[46:47], v[58:59]
	v_fma_f64 v[64:65], v[0:1], s[56:57], v[10:11]
	v_fma_f64 v[0:1], v[0:1], s[52:53], v[10:11]
	v_add_f64 v[10:11], v[238:239], v[242:243]
	v_add_f64 v[6:7], v[244:245], v[6:7]
	v_mul_f64 v[238:239], v[236:237], s[20:21]
	v_add_f64 v[4:5], v[244:245], v[4:5]
	v_add_f64 v[12:13], v[246:247], v[12:13]
	;; [unrolled: 1-line block ×7, first 2 shown]
	v_fma_f64 v[240:241], v[8:9], s[22:23], v[238:239]
	v_fma_f64 v[238:239], v[8:9], s[22:23], -v[238:239]
	v_add_f64 v[24:25], v[244:245], v[24:25]
	v_add_f64 v[28:29], v[246:247], v[28:29]
	;; [unrolled: 1-line block ×7, first 2 shown]
	v_mul_f64 v[240:241], v[10:11], s[22:23]
	v_add_f64 v[4:5], v[238:239], v[4:5]
	v_add_f64 v[30:31], v[246:247], v[30:31]
	;; [unrolled: 1-line block ×7, first 2 shown]
	v_fma_f64 v[238:239], v[66:67], s[20:21], v[240:241]
	v_fma_f64 v[242:243], v[66:67], s[36:37], v[240:241]
	v_add_f64 v[54:55], v[244:245], v[54:55]
	v_add_f64 v[50:51], v[246:247], v[50:51]
	v_add_f64 v[44:45], v[246:247], v[44:45]
	v_add_f64 v[56:57], v[244:245], v[56:57]
	v_add_f64 v[62:63], v[244:245], v[62:63]
	v_add_f64 v[58:59], v[246:247], v[58:59]
	v_add_f64 v[12:13], v[238:239], v[12:13]
	v_mul_f64 v[238:239], v[236:237], s[2:3]
	v_add_f64 v[14:15], v[242:243], v[14:15]
	v_add_f64 v[2:3], v[244:245], v[2:3]
	;; [unrolled: 1-line block ×7, first 2 shown]
	v_fma_f64 v[240:241], v[8:9], s[8:9], v[238:239]
	v_fma_f64 v[238:239], v[8:9], s[8:9], -v[238:239]
	v_add_f64 v[18:19], v[240:241], v[18:19]
	v_mul_f64 v[240:241], v[10:11], s[8:9]
	v_add_f64 v[16:17], v[238:239], v[16:17]
	v_fma_f64 v[238:239], v[66:67], s[2:3], v[240:241]
	v_fma_f64 v[242:243], v[66:67], s[10:11], v[240:241]
	v_add_f64 v[20:21], v[238:239], v[20:21]
	v_mul_f64 v[238:239], v[236:237], s[40:41]
	v_add_f64 v[22:23], v[242:243], v[22:23]
	v_fma_f64 v[240:241], v[8:9], s[42:43], v[238:239]
	v_fma_f64 v[238:239], v[8:9], s[42:43], -v[238:239]
	v_add_f64 v[26:27], v[240:241], v[26:27]
	v_mul_f64 v[240:241], v[10:11], s[42:43]
	v_add_f64 v[24:25], v[238:239], v[24:25]
	v_fma_f64 v[238:239], v[66:67], s[40:41], v[240:241]
	v_fma_f64 v[242:243], v[66:67], s[44:45], v[240:241]
	v_add_f64 v[28:29], v[238:239], v[28:29]
	v_mul_f64 v[238:239], v[236:237], s[52:53]
	v_add_f64 v[30:31], v[242:243], v[30:31]
	;; [unrolled: 10-line block ×4, first 2 shown]
	v_fma_f64 v[240:241], v[8:9], s[30:31], v[238:239]
	v_fma_f64 v[238:239], v[8:9], s[30:31], -v[238:239]
	v_add_f64 v[48:49], v[240:241], v[48:49]
	v_mul_f64 v[240:241], v[10:11], s[30:31]
	v_add_f64 v[54:55], v[238:239], v[54:55]
	v_fma_f64 v[238:239], v[66:67], s[38:39], v[240:241]
	v_fma_f64 v[242:243], v[66:67], s[26:27], v[240:241]
	v_add_f64 v[50:51], v[238:239], v[50:51]
	v_mul_f64 v[238:239], v[236:237], s[18:19]
	v_mul_f64 v[236:237], v[236:237], s[34:35]
	v_add_f64 v[52:53], v[242:243], v[52:53]
	v_fma_f64 v[240:241], v[8:9], s[14:15], v[238:239]
	v_fma_f64 v[238:239], v[8:9], s[14:15], -v[238:239]
	v_add_f64 v[56:57], v[240:241], v[56:57]
	v_mul_f64 v[240:241], v[10:11], s[14:15]
	v_add_f64 v[62:63], v[238:239], v[62:63]
	v_mul_f64 v[10:11], v[10:11], s[28:29]
	v_fma_f64 v[238:239], v[66:67], s[18:19], v[240:241]
	v_fma_f64 v[242:243], v[66:67], s[16:17], v[240:241]
	;; [unrolled: 1-line block ×3, first 2 shown]
	v_add_f64 v[58:59], v[238:239], v[58:59]
	v_fma_f64 v[238:239], v[8:9], s[28:29], v[236:237]
	v_fma_f64 v[8:9], v[8:9], s[28:29], -v[236:237]
	v_add_f64 v[60:61], v[242:243], v[60:61]
	v_add_f64 v[64:65], v[240:241], v[64:65]
	;; [unrolled: 1-line block ×4, first 2 shown]
	v_fma_f64 v[8:9], v[66:67], s[34:35], v[10:11]
	v_add_f64 v[66:67], v[228:229], -v[232:233]
	v_add_f64 v[10:11], v[230:231], v[234:235]
	v_add_f64 v[0:1], v[8:9], v[0:1]
	;; [unrolled: 1-line block ×3, first 2 shown]
	v_add_f64 v[228:229], v[230:231], -v[234:235]
	v_mul_f64 v[230:231], v[228:229], s[16:17]
	v_fma_f64 v[232:233], v[8:9], s[14:15], v[230:231]
	v_fma_f64 v[230:231], v[8:9], s[14:15], -v[230:231]
	v_add_f64 v[6:7], v[232:233], v[6:7]
	v_mul_f64 v[232:233], v[10:11], s[14:15]
	v_add_f64 v[4:5], v[230:231], v[4:5]
	v_fma_f64 v[230:231], v[66:67], s[16:17], v[232:233]
	v_fma_f64 v[234:235], v[66:67], s[18:19], v[232:233]
	v_add_f64 v[12:13], v[230:231], v[12:13]
	v_mul_f64 v[230:231], v[228:229], s[40:41]
	v_add_f64 v[14:15], v[234:235], v[14:15]
	v_fma_f64 v[232:233], v[8:9], s[42:43], v[230:231]
	v_fma_f64 v[230:231], v[8:9], s[42:43], -v[230:231]
	v_add_f64 v[18:19], v[232:233], v[18:19]
	v_mul_f64 v[232:233], v[10:11], s[42:43]
	v_add_f64 v[16:17], v[230:231], v[16:17]
	v_fma_f64 v[230:231], v[66:67], s[40:41], v[232:233]
	v_fma_f64 v[234:235], v[66:67], s[44:45], v[232:233]
	v_add_f64 v[20:21], v[230:231], v[20:21]
	v_mul_f64 v[230:231], v[228:229], s[56:57]
	v_add_f64 v[22:23], v[234:235], v[22:23]
	;; [unrolled: 10-line block ×5, first 2 shown]
	v_fma_f64 v[232:233], v[8:9], s[28:29], v[230:231]
	v_fma_f64 v[230:231], v[8:9], s[28:29], -v[230:231]
	v_add_f64 v[48:49], v[232:233], v[48:49]
	v_mul_f64 v[232:233], v[10:11], s[28:29]
	v_add_f64 v[54:55], v[230:231], v[54:55]
	v_fma_f64 v[230:231], v[66:67], s[24:25], v[232:233]
	v_fma_f64 v[234:235], v[66:67], s[34:35], v[232:233]
	v_add_f64 v[50:51], v[230:231], v[50:51]
	v_mul_f64 v[230:231], v[228:229], s[2:3]
	v_mul_f64 v[228:229], v[228:229], s[46:47]
	v_add_f64 v[52:53], v[234:235], v[52:53]
	v_fma_f64 v[232:233], v[8:9], s[8:9], v[230:231]
	v_fma_f64 v[230:231], v[8:9], s[8:9], -v[230:231]
	v_add_f64 v[56:57], v[232:233], v[56:57]
	v_mul_f64 v[232:233], v[10:11], s[8:9]
	v_add_f64 v[62:63], v[230:231], v[62:63]
	v_mul_f64 v[10:11], v[10:11], s[48:49]
	v_fma_f64 v[230:231], v[66:67], s[2:3], v[232:233]
	v_fma_f64 v[234:235], v[66:67], s[10:11], v[232:233]
	;; [unrolled: 1-line block ×3, first 2 shown]
	v_add_f64 v[58:59], v[230:231], v[58:59]
	v_fma_f64 v[230:231], v[8:9], s[48:49], v[228:229]
	v_fma_f64 v[8:9], v[8:9], s[48:49], -v[228:229]
	v_add_f64 v[60:61], v[234:235], v[60:61]
	v_add_f64 v[234:235], v[190:191], -v[194:195]
	v_add_f64 v[64:65], v[232:233], v[64:65]
	v_add_f64 v[232:233], v[188:189], -v[192:193]
	v_add_f64 v[230:231], v[230:231], v[238:239]
	v_add_f64 v[2:3], v[8:9], v[2:3]
	v_fma_f64 v[8:9], v[66:67], s[46:47], v[10:11]
	v_add_f64 v[66:67], v[220:221], -v[224:225]
	v_add_f64 v[10:11], v[222:223], v[226:227]
	v_add_f64 v[0:1], v[8:9], v[0:1]
	;; [unrolled: 1-line block ×3, first 2 shown]
	v_add_f64 v[220:221], v[222:223], -v[226:227]
	v_mul_f64 v[222:223], v[220:221], s[2:3]
	v_fma_f64 v[224:225], v[8:9], s[8:9], v[222:223]
	v_fma_f64 v[222:223], v[8:9], s[8:9], -v[222:223]
	v_add_f64 v[6:7], v[224:225], v[6:7]
	v_mul_f64 v[224:225], v[10:11], s[8:9]
	v_add_f64 v[4:5], v[222:223], v[4:5]
	v_fma_f64 v[222:223], v[66:67], s[2:3], v[224:225]
	v_fma_f64 v[226:227], v[66:67], s[10:11], v[224:225]
	v_add_f64 v[12:13], v[222:223], v[12:13]
	v_mul_f64 v[222:223], v[220:221], s[52:53]
	v_add_f64 v[14:15], v[226:227], v[14:15]
	v_fma_f64 v[224:225], v[8:9], s[54:55], v[222:223]
	v_fma_f64 v[222:223], v[8:9], s[54:55], -v[222:223]
	v_add_f64 v[18:19], v[224:225], v[18:19]
	v_mul_f64 v[224:225], v[10:11], s[54:55]
	v_add_f64 v[16:17], v[222:223], v[16:17]
	v_fma_f64 v[222:223], v[66:67], s[52:53], v[224:225]
	v_fma_f64 v[226:227], v[66:67], s[56:57], v[224:225]
	v_add_f64 v[20:21], v[222:223], v[20:21]
	v_mul_f64 v[222:223], v[220:221], s[38:39]
	v_add_f64 v[22:23], v[226:227], v[22:23]
	;; [unrolled: 10-line block ×5, first 2 shown]
	v_fma_f64 v[224:225], v[8:9], s[48:49], v[222:223]
	v_fma_f64 v[222:223], v[8:9], s[48:49], -v[222:223]
	v_add_f64 v[48:49], v[224:225], v[48:49]
	v_mul_f64 v[224:225], v[10:11], s[48:49]
	v_add_f64 v[54:55], v[222:223], v[54:55]
	v_fma_f64 v[222:223], v[66:67], s[46:47], v[224:225]
	v_fma_f64 v[226:227], v[66:67], s[50:51], v[224:225]
	v_add_f64 v[50:51], v[222:223], v[50:51]
	v_mul_f64 v[222:223], v[220:221], s[44:45]
	v_mul_f64 v[220:221], v[220:221], s[36:37]
	v_add_f64 v[52:53], v[226:227], v[52:53]
	v_fma_f64 v[224:225], v[8:9], s[42:43], v[222:223]
	v_fma_f64 v[222:223], v[8:9], s[42:43], -v[222:223]
	v_add_f64 v[56:57], v[224:225], v[56:57]
	v_mul_f64 v[224:225], v[10:11], s[42:43]
	v_add_f64 v[62:63], v[222:223], v[62:63]
	v_mul_f64 v[10:11], v[10:11], s[22:23]
	v_fma_f64 v[222:223], v[66:67], s[44:45], v[224:225]
	v_fma_f64 v[226:227], v[66:67], s[40:41], v[224:225]
	;; [unrolled: 1-line block ×3, first 2 shown]
	v_add_f64 v[58:59], v[222:223], v[58:59]
	v_fma_f64 v[222:223], v[8:9], s[22:23], v[220:221]
	v_fma_f64 v[8:9], v[8:9], s[22:23], -v[220:221]
	v_add_f64 v[60:61], v[226:227], v[60:61]
	v_add_f64 v[64:65], v[224:225], v[64:65]
	;; [unrolled: 1-line block ×5, first 2 shown]
	v_fma_f64 v[8:9], v[66:67], s[36:37], v[10:11]
	v_add_f64 v[66:67], v[212:213], -v[216:217]
	v_add_f64 v[10:11], v[214:215], v[218:219]
	v_add_f64 v[230:231], v[188:189], v[192:193]
	;; [unrolled: 1-line block ×4, first 2 shown]
	v_add_f64 v[212:213], v[214:215], -v[218:219]
	v_mul_f64 v[214:215], v[212:213], s[26:27]
	v_fma_f64 v[216:217], v[8:9], s[30:31], v[214:215]
	v_fma_f64 v[214:215], v[8:9], s[30:31], -v[214:215]
	v_add_f64 v[6:7], v[216:217], v[6:7]
	v_mul_f64 v[216:217], v[10:11], s[30:31]
	v_add_f64 v[4:5], v[214:215], v[4:5]
	v_fma_f64 v[214:215], v[66:67], s[26:27], v[216:217]
	v_fma_f64 v[218:219], v[66:67], s[38:39], v[216:217]
	v_add_f64 v[12:13], v[214:215], v[12:13]
	v_mul_f64 v[214:215], v[212:213], s[50:51]
	v_add_f64 v[14:15], v[218:219], v[14:15]
	v_fma_f64 v[216:217], v[8:9], s[48:49], v[214:215]
	v_fma_f64 v[214:215], v[8:9], s[48:49], -v[214:215]
	v_add_f64 v[18:19], v[216:217], v[18:19]
	v_mul_f64 v[216:217], v[10:11], s[48:49]
	v_add_f64 v[16:17], v[214:215], v[16:17]
	v_fma_f64 v[214:215], v[66:67], s[50:51], v[216:217]
	v_fma_f64 v[218:219], v[66:67], s[46:47], v[216:217]
	v_add_f64 v[20:21], v[214:215], v[20:21]
	v_mul_f64 v[214:215], v[212:213], s[36:37]
	v_add_f64 v[22:23], v[218:219], v[22:23]
	;; [unrolled: 10-line block ×5, first 2 shown]
	v_fma_f64 v[216:217], v[8:9], s[8:9], v[214:215]
	v_fma_f64 v[214:215], v[8:9], s[8:9], -v[214:215]
	v_add_f64 v[48:49], v[216:217], v[48:49]
	v_mul_f64 v[216:217], v[10:11], s[8:9]
	v_add_f64 v[54:55], v[214:215], v[54:55]
	v_fma_f64 v[214:215], v[66:67], s[10:11], v[216:217]
	v_fma_f64 v[218:219], v[66:67], s[2:3], v[216:217]
	v_add_f64 v[50:51], v[214:215], v[50:51]
	v_mul_f64 v[214:215], v[212:213], s[24:25]
	v_mul_f64 v[212:213], v[212:213], s[40:41]
	v_add_f64 v[52:53], v[218:219], v[52:53]
	v_fma_f64 v[216:217], v[8:9], s[28:29], v[214:215]
	v_fma_f64 v[214:215], v[8:9], s[28:29], -v[214:215]
	v_add_f64 v[56:57], v[216:217], v[56:57]
	v_mul_f64 v[216:217], v[10:11], s[28:29]
	v_add_f64 v[62:63], v[214:215], v[62:63]
	v_mul_f64 v[10:11], v[10:11], s[42:43]
	v_fma_f64 v[214:215], v[66:67], s[24:25], v[216:217]
	v_fma_f64 v[218:219], v[66:67], s[34:35], v[216:217]
	v_fma_f64 v[216:217], v[66:67], s[44:45], v[10:11]
	v_add_f64 v[58:59], v[214:215], v[58:59]
	v_fma_f64 v[214:215], v[8:9], s[42:43], v[212:213]
	v_fma_f64 v[8:9], v[8:9], s[42:43], -v[212:213]
	v_add_f64 v[64:65], v[216:217], v[64:65]
	v_add_f64 v[60:61], v[218:219], v[60:61]
	;; [unrolled: 1-line block ×4, first 2 shown]
	v_fma_f64 v[8:9], v[66:67], s[40:41], v[10:11]
	v_add_f64 v[66:67], v[204:205], -v[208:209]
	v_add_f64 v[10:11], v[206:207], v[210:211]
	v_add_f64 v[0:1], v[8:9], v[0:1]
	;; [unrolled: 1-line block ×3, first 2 shown]
	v_add_f64 v[204:205], v[206:207], -v[210:211]
	v_mul_f64 v[206:207], v[204:205], s[40:41]
	v_fma_f64 v[208:209], v[8:9], s[42:43], v[206:207]
	v_fma_f64 v[206:207], v[8:9], s[42:43], -v[206:207]
	v_add_f64 v[6:7], v[208:209], v[6:7]
	v_mul_f64 v[208:209], v[10:11], s[42:43]
	v_add_f64 v[4:5], v[206:207], v[4:5]
	v_fma_f64 v[206:207], v[66:67], s[40:41], v[208:209]
	v_fma_f64 v[210:211], v[66:67], s[44:45], v[208:209]
	v_add_f64 v[12:13], v[206:207], v[12:13]
	v_mul_f64 v[206:207], v[204:205], s[38:39]
	v_add_f64 v[14:15], v[210:211], v[14:15]
	v_fma_f64 v[208:209], v[8:9], s[30:31], v[206:207]
	v_fma_f64 v[206:207], v[8:9], s[30:31], -v[206:207]
	v_add_f64 v[18:19], v[208:209], v[18:19]
	v_mul_f64 v[208:209], v[10:11], s[30:31]
	v_add_f64 v[16:17], v[206:207], v[16:17]
	v_fma_f64 v[206:207], v[66:67], s[38:39], v[208:209]
	v_fma_f64 v[210:211], v[66:67], s[26:27], v[208:209]
	v_add_f64 v[20:21], v[206:207], v[20:21]
	v_mul_f64 v[206:207], v[204:205], s[24:25]
	v_add_f64 v[22:23], v[210:211], v[22:23]
	;; [unrolled: 10-line block ×5, first 2 shown]
	v_fma_f64 v[208:209], v[8:9], s[22:23], v[206:207]
	v_fma_f64 v[206:207], v[8:9], s[22:23], -v[206:207]
	v_add_f64 v[48:49], v[208:209], v[48:49]
	v_mul_f64 v[208:209], v[10:11], s[22:23]
	v_add_f64 v[54:55], v[206:207], v[54:55]
	v_fma_f64 v[206:207], v[66:67], s[20:21], v[208:209]
	v_fma_f64 v[210:211], v[66:67], s[36:37], v[208:209]
	v_add_f64 v[50:51], v[206:207], v[50:51]
	v_mul_f64 v[206:207], v[204:205], s[52:53]
	v_mul_f64 v[204:205], v[204:205], s[18:19]
	v_add_f64 v[52:53], v[210:211], v[52:53]
	v_fma_f64 v[208:209], v[8:9], s[54:55], v[206:207]
	v_fma_f64 v[206:207], v[8:9], s[54:55], -v[206:207]
	v_add_f64 v[56:57], v[208:209], v[56:57]
	v_mul_f64 v[208:209], v[10:11], s[54:55]
	v_add_f64 v[62:63], v[206:207], v[62:63]
	v_mul_f64 v[10:11], v[10:11], s[14:15]
	v_fma_f64 v[206:207], v[66:67], s[52:53], v[208:209]
	v_fma_f64 v[210:211], v[66:67], s[56:57], v[208:209]
	;; [unrolled: 1-line block ×3, first 2 shown]
	v_add_f64 v[58:59], v[206:207], v[58:59]
	v_fma_f64 v[206:207], v[8:9], s[14:15], v[204:205]
	v_fma_f64 v[8:9], v[8:9], s[14:15], -v[204:205]
	v_add_f64 v[64:65], v[208:209], v[64:65]
	v_add_f64 v[60:61], v[210:211], v[60:61]
	;; [unrolled: 1-line block ×4, first 2 shown]
	v_fma_f64 v[8:9], v[66:67], s[18:19], v[10:11]
	v_add_f64 v[66:67], v[196:197], -v[200:201]
	v_add_f64 v[10:11], v[198:199], v[202:203]
	v_add_f64 v[0:1], v[8:9], v[0:1]
	;; [unrolled: 1-line block ×3, first 2 shown]
	v_add_f64 v[196:197], v[198:199], -v[202:203]
	v_mul_f64 v[198:199], v[196:197], s[46:47]
	v_fma_f64 v[200:201], v[8:9], s[48:49], v[198:199]
	v_fma_f64 v[198:199], v[8:9], s[48:49], -v[198:199]
	v_add_f64 v[6:7], v[200:201], v[6:7]
	v_mul_f64 v[200:201], v[10:11], s[48:49]
	v_add_f64 v[4:5], v[198:199], v[4:5]
	v_fma_f64 v[198:199], v[66:67], s[46:47], v[200:201]
	v_fma_f64 v[202:203], v[66:67], s[50:51], v[200:201]
	v_add_f64 v[12:13], v[198:199], v[12:13]
	v_mul_f64 v[198:199], v[196:197], s[18:19]
	v_add_f64 v[14:15], v[202:203], v[14:15]
	v_fma_f64 v[200:201], v[8:9], s[14:15], v[198:199]
	v_fma_f64 v[198:199], v[8:9], s[14:15], -v[198:199]
	v_add_f64 v[18:19], v[200:201], v[18:19]
	v_mul_f64 v[200:201], v[10:11], s[14:15]
	v_add_f64 v[16:17], v[198:199], v[16:17]
	v_fma_f64 v[198:199], v[66:67], s[18:19], v[200:201]
	v_fma_f64 v[202:203], v[66:67], s[16:17], v[200:201]
	v_add_f64 v[20:21], v[198:199], v[20:21]
	v_mul_f64 v[198:199], v[196:197], s[2:3]
	v_add_f64 v[22:23], v[202:203], v[22:23]
	;; [unrolled: 10-line block ×5, first 2 shown]
	v_fma_f64 v[200:201], v[8:9], s[54:55], v[198:199]
	v_fma_f64 v[198:199], v[8:9], s[54:55], -v[198:199]
	v_add_f64 v[48:49], v[200:201], v[48:49]
	v_mul_f64 v[200:201], v[10:11], s[54:55]
	v_add_f64 v[54:55], v[198:199], v[54:55]
	v_fma_f64 v[198:199], v[66:67], s[52:53], v[200:201]
	v_fma_f64 v[202:203], v[66:67], s[56:57], v[200:201]
	v_add_f64 v[50:51], v[198:199], v[50:51]
	v_mul_f64 v[198:199], v[196:197], s[36:37]
	v_mul_f64 v[196:197], v[196:197], s[26:27]
	v_add_f64 v[52:53], v[202:203], v[52:53]
	v_fma_f64 v[200:201], v[8:9], s[22:23], v[198:199]
	v_fma_f64 v[198:199], v[8:9], s[22:23], -v[198:199]
	v_add_f64 v[56:57], v[200:201], v[56:57]
	v_mul_f64 v[200:201], v[10:11], s[22:23]
	v_add_f64 v[62:63], v[198:199], v[62:63]
	v_mul_f64 v[10:11], v[10:11], s[30:31]
	v_fma_f64 v[198:199], v[66:67], s[36:37], v[200:201]
	v_fma_f64 v[202:203], v[66:67], s[20:21], v[200:201]
	v_add_f64 v[58:59], v[198:199], v[58:59]
	v_fma_f64 v[198:199], v[8:9], s[30:31], v[196:197]
	v_fma_f64 v[8:9], v[8:9], s[30:31], -v[196:197]
	v_add_f64 v[60:61], v[202:203], v[60:61]
	v_add_f64 v[224:225], v[198:199], v[206:207]
	;; [unrolled: 1-line block ×3, first 2 shown]
	v_fma_f64 v[2:3], v[66:67], s[26:27], v[10:11]
	v_mul_f64 v[8:9], v[234:235], s[52:53]
	v_fma_f64 v[198:199], v[66:67], s[38:39], v[10:11]
	v_add_f64 v[66:67], v[2:3], v[0:1]
	v_fma_f64 v[0:1], v[230:231], s[54:55], v[8:9]
	v_fma_f64 v[8:9], v[230:231], s[54:55], -v[8:9]
	v_add_f64 v[64:65], v[198:199], v[64:65]
	v_add_f64 v[0:1], v[0:1], v[6:7]
	v_mul_f64 v[6:7], v[226:227], s[54:55]
	v_add_f64 v[4:5], v[8:9], v[4:5]
	v_fma_f64 v[2:3], v[232:233], s[56:57], v[6:7]
	v_fma_f64 v[6:7], v[232:233], s[52:53], v[6:7]
	v_add_f64 v[2:3], v[2:3], v[14:15]
	v_mul_f64 v[14:15], v[226:227], s[28:29]
	v_add_f64 v[6:7], v[6:7], v[12:13]
	v_mul_f64 v[12:13], v[234:235], s[34:35]
	v_fma_f64 v[10:11], v[232:233], s[24:25], v[14:15]
	v_fma_f64 v[14:15], v[232:233], s[34:35], v[14:15]
	;; [unrolled: 1-line block ×3, first 2 shown]
	v_fma_f64 v[12:13], v[230:231], s[28:29], -v[12:13]
	v_add_f64 v[10:11], v[10:11], v[22:23]
	v_add_f64 v[14:15], v[14:15], v[20:21]
	v_mul_f64 v[20:21], v[234:235], s[46:47]
	v_add_f64 v[12:13], v[12:13], v[16:17]
	v_mul_f64 v[22:23], v[226:227], s[48:49]
	v_add_f64 v[8:9], v[8:9], v[18:19]
	v_fma_f64 v[16:17], v[230:231], s[48:49], v[20:21]
	v_fma_f64 v[20:21], v[230:231], s[48:49], -v[20:21]
	v_fma_f64 v[18:19], v[232:233], s[50:51], v[22:23]
	v_add_f64 v[16:17], v[16:17], v[26:27]
	v_add_f64 v[188:189], v[20:21], v[24:25]
	v_fma_f64 v[20:21], v[232:233], s[46:47], v[22:23]
	v_add_f64 v[18:19], v[18:19], v[30:31]
	v_add_f64 v[190:191], v[20:21], v[28:29]
	v_mul_f64 v[20:21], v[234:235], s[36:37]
	v_fma_f64 v[22:23], v[230:231], s[22:23], v[20:21]
	v_fma_f64 v[20:21], v[230:231], s[22:23], -v[20:21]
	v_add_f64 v[192:193], v[22:23], v[32:33]
	v_mul_f64 v[22:23], v[226:227], s[22:23]
	v_add_f64 v[196:197], v[20:21], v[38:39]
	v_fma_f64 v[20:21], v[232:233], s[36:37], v[22:23]
	v_fma_f64 v[24:25], v[232:233], s[20:21], v[22:23]
	v_add_f64 v[198:199], v[20:21], v[34:35]
	v_mul_f64 v[20:21], v[234:235], s[40:41]
	v_add_f64 v[194:195], v[24:25], v[36:37]
	v_fma_f64 v[22:23], v[230:231], s[42:43], v[20:21]
	v_fma_f64 v[20:21], v[230:231], s[42:43], -v[20:21]
	v_add_f64 v[200:201], v[22:23], v[40:41]
	v_mul_f64 v[22:23], v[226:227], s[42:43]
	v_add_f64 v[204:205], v[20:21], v[46:47]
	v_fma_f64 v[20:21], v[232:233], s[40:41], v[22:23]
	v_fma_f64 v[24:25], v[232:233], s[44:45], v[22:23]
	v_add_f64 v[206:207], v[20:21], v[42:43]
	v_mul_f64 v[20:21], v[234:235], s[18:19]
	v_add_f64 v[202:203], v[24:25], v[44:45]
	;; [unrolled: 10-line block ×4, first 2 shown]
	v_fma_f64 v[22:23], v[230:231], s[8:9], v[20:21]
	v_fma_f64 v[20:21], v[230:231], s[8:9], -v[20:21]
	v_add_f64 v[224:225], v[22:23], v[224:225]
	v_mul_f64 v[22:23], v[226:227], s[8:9]
	v_add_f64 v[228:229], v[20:21], v[228:229]
	v_fma_f64 v[24:25], v[232:233], s[2:3], v[22:23]
	v_fma_f64 v[20:21], v[232:233], s[10:11], v[22:23]
	v_add_f64 v[226:227], v[24:25], v[64:65]
	v_add_f64 v[230:231], v[20:21], v[66:67]
	ds_write_b128 v252, v[184:187]
	ds_write_b128 v252, v[0:3] offset:16
	ds_write_b128 v252, v[8:11] offset:32
	;; [unrolled: 1-line block ×16, first 2 shown]
	s_waitcnt lgkmcnt(0)
	; wave barrier
	s_waitcnt lgkmcnt(0)
	ds_read_b128 v[184:187], v249
	ds_read_b128 v[0:3], v249 offset:816
	ds_read_b128 v[4:7], v249 offset:1632
	;; [unrolled: 1-line block ×16, first 2 shown]
	s_waitcnt lgkmcnt(14)
	v_mul_f64 v[20:21], v[146:147], v[2:3]
	s_waitcnt lgkmcnt(0)
	; wave barrier
	s_waitcnt lgkmcnt(0)
	v_fma_f64 v[20:21], v[144:145], v[0:1], v[20:21]
	v_mul_f64 v[0:1], v[146:147], v[0:1]
	v_fma_f64 v[0:1], v[144:145], v[2:3], -v[0:1]
	v_mul_f64 v[2:3], v[130:131], v[6:7]
	v_fma_f64 v[200:201], v[128:129], v[4:5], v[2:3]
	v_mul_f64 v[2:3], v[130:131], v[4:5]
	v_mul_f64 v[4:5], v[166:167], v[242:243]
	v_fma_f64 v[198:199], v[128:129], v[6:7], -v[2:3]
	v_mul_f64 v[2:3], v[126:127], v[10:11]
	v_add_f64 v[6:7], v[184:185], v[20:21]
	v_fma_f64 v[4:5], v[164:165], v[244:245], -v[4:5]
	v_fma_f64 v[196:197], v[124:125], v[8:9], v[2:3]
	v_mul_f64 v[2:3], v[126:127], v[8:9]
	v_add_f64 v[8:9], v[186:187], v[0:1]
	v_add_f64 v[6:7], v[6:7], v[200:201]
	v_fma_f64 v[194:195], v[124:125], v[10:11], -v[2:3]
	v_mul_f64 v[2:3], v[122:123], v[14:15]
	v_add_f64 v[8:9], v[8:9], v[198:199]
	v_add_f64 v[6:7], v[6:7], v[196:197]
	v_fma_f64 v[192:193], v[120:121], v[12:13], v[2:3]
	v_mul_f64 v[2:3], v[122:123], v[12:13]
	v_add_f64 v[8:9], v[8:9], v[194:195]
	v_add_f64 v[6:7], v[6:7], v[192:193]
	v_fma_f64 v[190:191], v[120:121], v[14:15], -v[2:3]
	v_mul_f64 v[2:3], v[162:163], v[18:19]
	v_add_f64 v[8:9], v[8:9], v[190:191]
	v_fma_f64 v[188:189], v[160:161], v[16:17], v[2:3]
	v_mul_f64 v[2:3], v[162:163], v[16:17]
	v_add_f64 v[6:7], v[6:7], v[188:189]
	v_fma_f64 v[160:161], v[160:161], v[18:19], -v[2:3]
	v_mul_f64 v[2:3], v[142:143], v[204:205]
	v_add_f64 v[8:9], v[8:9], v[160:161]
	v_fma_f64 v[144:145], v[140:141], v[202:203], v[2:3]
	v_mul_f64 v[2:3], v[142:143], v[202:203]
	;; [unrolled: 6-line block ×11, first 2 shown]
	v_add_f64 v[6:7], v[6:7], v[172:173]
	v_fma_f64 v[162:163], v[168:169], v[240:241], -v[2:3]
	v_mul_f64 v[2:3], v[166:167], v[244:245]
	v_add_f64 v[8:9], v[8:9], v[162:163]
	v_fma_f64 v[2:3], v[164:165], v[242:243], v[2:3]
	v_add_f64 v[164:165], v[200:201], -v[172:173]
	v_add_f64 v[122:123], v[8:9], v[4:5]
	v_add_f64 v[8:9], v[0:1], v[4:5]
	;; [unrolled: 1-line block ×4, first 2 shown]
	v_add_f64 v[2:3], v[20:21], -v[2:3]
	v_add_f64 v[0:1], v[0:1], -v[4:5]
	v_mul_f64 v[12:13], v[8:9], s[28:29]
	v_mul_f64 v[20:21], v[8:9], s[22:23]
	;; [unrolled: 1-line block ×9, first 2 shown]
	v_fma_f64 v[14:15], v[2:3], s[34:35], v[12:13]
	v_fma_f64 v[12:13], v[2:3], s[24:25], v[12:13]
	v_mul_f64 v[16:17], v[0:1], s[20:21]
	v_fma_f64 v[22:23], v[2:3], s[36:37], v[20:21]
	v_fma_f64 v[20:21], v[2:3], s[20:21], v[20:21]
	v_mul_f64 v[24:25], v[0:1], s[16:17]
	;; [unrolled: 3-line block ×7, first 2 shown]
	v_fma_f64 v[66:67], v[2:3], s[56:57], v[8:9]
	v_fma_f64 v[2:3], v[2:3], s[52:53], v[8:9]
	v_add_f64 v[8:9], v[198:199], v[162:163]
	v_add_f64 v[162:163], v[198:199], -v[162:163]
	v_fma_f64 v[10:11], v[6:7], s[28:29], v[4:5]
	v_fma_f64 v[4:5], v[6:7], s[28:29], -v[4:5]
	v_fma_f64 v[18:19], v[6:7], s[22:23], v[16:17]
	v_fma_f64 v[16:17], v[6:7], s[22:23], -v[16:17]
	;; [unrolled: 2-line block ×8, first 2 shown]
	v_add_f64 v[6:7], v[200:201], v[172:173]
	v_mul_f64 v[166:167], v[162:163], s[20:21]
	v_add_f64 v[10:11], v[184:185], v[10:11]
	v_add_f64 v[4:5], v[184:185], v[4:5]
	;; [unrolled: 1-line block ×7, first 2 shown]
	v_fma_f64 v[168:169], v[6:7], s[22:23], v[166:167]
	v_fma_f64 v[166:167], v[6:7], s[22:23], -v[166:167]
	v_add_f64 v[26:27], v[184:185], v[26:27]
	v_add_f64 v[24:25], v[184:185], v[24:25]
	;; [unrolled: 1-line block ×7, first 2 shown]
	v_mul_f64 v[168:169], v[8:9], s[22:23]
	v_add_f64 v[4:5], v[166:167], v[4:5]
	v_add_f64 v[36:37], v[186:187], v[36:37]
	;; [unrolled: 1-line block ×7, first 2 shown]
	v_fma_f64 v[166:167], v[164:165], s[20:21], v[168:169]
	v_fma_f64 v[170:171], v[164:165], s[36:37], v[168:169]
	v_add_f64 v[50:51], v[184:185], v[50:51]
	v_add_f64 v[48:49], v[184:185], v[48:49]
	;; [unrolled: 1-line block ×7, first 2 shown]
	v_mul_f64 v[166:167], v[162:163], s[2:3]
	v_add_f64 v[14:15], v[170:171], v[14:15]
	v_add_f64 v[60:61], v[186:187], v[60:61]
	;; [unrolled: 1-line block ×7, first 2 shown]
	v_fma_f64 v[168:169], v[6:7], s[8:9], v[166:167]
	v_fma_f64 v[166:167], v[6:7], s[8:9], -v[166:167]
	v_add_f64 v[62:63], v[186:187], v[62:63]
	v_add_f64 v[18:19], v[168:169], v[18:19]
	v_mul_f64 v[168:169], v[8:9], s[8:9]
	v_add_f64 v[16:17], v[166:167], v[16:17]
	v_fma_f64 v[166:167], v[164:165], s[2:3], v[168:169]
	v_fma_f64 v[170:171], v[164:165], s[10:11], v[168:169]
	v_add_f64 v[20:21], v[166:167], v[20:21]
	v_mul_f64 v[166:167], v[162:163], s[40:41]
	v_add_f64 v[22:23], v[170:171], v[22:23]
	v_fma_f64 v[168:169], v[6:7], s[42:43], v[166:167]
	v_fma_f64 v[166:167], v[6:7], s[42:43], -v[166:167]
	v_add_f64 v[26:27], v[168:169], v[26:27]
	v_mul_f64 v[168:169], v[8:9], s[42:43]
	v_add_f64 v[24:25], v[166:167], v[24:25]
	v_fma_f64 v[166:167], v[164:165], s[40:41], v[168:169]
	v_fma_f64 v[170:171], v[164:165], s[44:45], v[168:169]
	v_add_f64 v[28:29], v[166:167], v[28:29]
	v_mul_f64 v[166:167], v[162:163], s[52:53]
	v_add_f64 v[30:31], v[170:171], v[30:31]
	v_fma_f64 v[168:169], v[6:7], s[54:55], v[166:167]
	v_fma_f64 v[166:167], v[6:7], s[54:55], -v[166:167]
	;; [unrolled: 10-line block ×4, first 2 shown]
	v_add_f64 v[50:51], v[168:169], v[50:51]
	v_mul_f64 v[168:169], v[8:9], s[30:31]
	v_add_f64 v[48:49], v[166:167], v[48:49]
	v_fma_f64 v[166:167], v[164:165], s[38:39], v[168:169]
	v_fma_f64 v[170:171], v[164:165], s[26:27], v[168:169]
	v_add_f64 v[52:53], v[166:167], v[52:53]
	v_mul_f64 v[166:167], v[162:163], s[18:19]
	v_mul_f64 v[162:163], v[162:163], s[34:35]
	v_add_f64 v[54:55], v[170:171], v[54:55]
	v_fma_f64 v[168:169], v[6:7], s[14:15], v[166:167]
	v_fma_f64 v[166:167], v[6:7], s[14:15], -v[166:167]
	v_add_f64 v[58:59], v[168:169], v[58:59]
	v_mul_f64 v[168:169], v[8:9], s[14:15]
	v_add_f64 v[56:57], v[166:167], v[56:57]
	v_mul_f64 v[8:9], v[8:9], s[28:29]
	v_fma_f64 v[166:167], v[164:165], s[18:19], v[168:169]
	v_fma_f64 v[170:171], v[164:165], s[16:17], v[168:169]
	v_add_f64 v[168:169], v[128:129], v[130:131]
	v_add_f64 v[60:61], v[166:167], v[60:61]
	v_fma_f64 v[166:167], v[6:7], s[28:29], v[162:163]
	v_fma_f64 v[6:7], v[6:7], s[28:29], -v[162:163]
	v_add_f64 v[62:63], v[170:171], v[62:63]
	v_add_f64 v[170:171], v[128:129], -v[130:131]
	v_add_f64 v[64:65], v[166:167], v[64:65]
	v_fma_f64 v[166:167], v[164:165], s[24:25], v[8:9]
	v_add_f64 v[0:1], v[6:7], v[0:1]
	v_fma_f64 v[6:7], v[164:165], s[34:35], v[8:9]
	v_add_f64 v[8:9], v[194:195], v[156:157]
	v_add_f64 v[156:157], v[194:195], -v[156:157]
	v_add_f64 v[66:67], v[166:167], v[66:67]
	v_add_f64 v[2:3], v[6:7], v[2:3]
	;; [unrolled: 1-line block ×3, first 2 shown]
	v_mul_f64 v[162:163], v[156:157], s[16:17]
	v_add_f64 v[158:159], v[196:197], -v[158:159]
	v_fma_f64 v[164:165], v[6:7], s[14:15], v[162:163]
	v_fma_f64 v[162:163], v[6:7], s[14:15], -v[162:163]
	v_add_f64 v[10:11], v[164:165], v[10:11]
	v_mul_f64 v[164:165], v[8:9], s[14:15]
	v_add_f64 v[4:5], v[162:163], v[4:5]
	v_fma_f64 v[162:163], v[158:159], s[16:17], v[164:165]
	v_fma_f64 v[166:167], v[158:159], s[18:19], v[164:165]
	v_add_f64 v[12:13], v[162:163], v[12:13]
	v_mul_f64 v[162:163], v[156:157], s[40:41]
	v_add_f64 v[14:15], v[166:167], v[14:15]
	v_fma_f64 v[164:165], v[6:7], s[42:43], v[162:163]
	v_fma_f64 v[162:163], v[6:7], s[42:43], -v[162:163]
	v_add_f64 v[18:19], v[164:165], v[18:19]
	v_mul_f64 v[164:165], v[8:9], s[42:43]
	v_add_f64 v[16:17], v[162:163], v[16:17]
	v_fma_f64 v[162:163], v[158:159], s[40:41], v[164:165]
	v_fma_f64 v[166:167], v[158:159], s[44:45], v[164:165]
	v_add_f64 v[20:21], v[162:163], v[20:21]
	v_mul_f64 v[162:163], v[156:157], s[56:57]
	v_add_f64 v[22:23], v[166:167], v[22:23]
	;; [unrolled: 10-line block ×5, first 2 shown]
	v_fma_f64 v[164:165], v[6:7], s[28:29], v[162:163]
	v_fma_f64 v[162:163], v[6:7], s[28:29], -v[162:163]
	v_add_f64 v[50:51], v[164:165], v[50:51]
	v_mul_f64 v[164:165], v[8:9], s[28:29]
	v_add_f64 v[48:49], v[162:163], v[48:49]
	v_fma_f64 v[162:163], v[158:159], s[24:25], v[164:165]
	v_fma_f64 v[166:167], v[158:159], s[34:35], v[164:165]
	v_add_f64 v[52:53], v[162:163], v[52:53]
	v_mul_f64 v[162:163], v[156:157], s[2:3]
	v_mul_f64 v[156:157], v[156:157], s[46:47]
	v_add_f64 v[54:55], v[166:167], v[54:55]
	v_fma_f64 v[164:165], v[6:7], s[8:9], v[162:163]
	v_fma_f64 v[162:163], v[6:7], s[8:9], -v[162:163]
	v_add_f64 v[58:59], v[164:165], v[58:59]
	v_mul_f64 v[164:165], v[8:9], s[8:9]
	v_add_f64 v[56:57], v[162:163], v[56:57]
	v_mul_f64 v[8:9], v[8:9], s[48:49]
	v_fma_f64 v[162:163], v[158:159], s[2:3], v[164:165]
	v_fma_f64 v[166:167], v[158:159], s[10:11], v[164:165]
	v_add_f64 v[60:61], v[162:163], v[60:61]
	v_fma_f64 v[162:163], v[6:7], s[48:49], v[156:157]
	v_fma_f64 v[6:7], v[6:7], s[48:49], -v[156:157]
	v_add_f64 v[62:63], v[166:167], v[62:63]
	v_add_f64 v[64:65], v[162:163], v[64:65]
	v_fma_f64 v[162:163], v[158:159], s[50:51], v[8:9]
	v_add_f64 v[0:1], v[6:7], v[0:1]
	v_fma_f64 v[6:7], v[158:159], s[46:47], v[8:9]
	v_add_f64 v[8:9], v[190:191], v[150:151]
	v_add_f64 v[150:151], v[190:191], -v[150:151]
	v_add_f64 v[66:67], v[162:163], v[66:67]
	v_add_f64 v[2:3], v[6:7], v[2:3]
	;; [unrolled: 1-line block ×3, first 2 shown]
	v_mul_f64 v[156:157], v[150:151], s[2:3]
	v_add_f64 v[154:155], v[192:193], -v[154:155]
	v_fma_f64 v[158:159], v[6:7], s[8:9], v[156:157]
	v_fma_f64 v[156:157], v[6:7], s[8:9], -v[156:157]
	v_add_f64 v[10:11], v[158:159], v[10:11]
	v_mul_f64 v[158:159], v[8:9], s[8:9]
	v_add_f64 v[4:5], v[156:157], v[4:5]
	v_fma_f64 v[156:157], v[154:155], s[2:3], v[158:159]
	v_fma_f64 v[162:163], v[154:155], s[10:11], v[158:159]
	v_add_f64 v[12:13], v[156:157], v[12:13]
	v_mul_f64 v[156:157], v[150:151], s[52:53]
	v_add_f64 v[14:15], v[162:163], v[14:15]
	v_fma_f64 v[158:159], v[6:7], s[54:55], v[156:157]
	v_fma_f64 v[156:157], v[6:7], s[54:55], -v[156:157]
	v_add_f64 v[18:19], v[158:159], v[18:19]
	v_mul_f64 v[158:159], v[8:9], s[54:55]
	v_add_f64 v[16:17], v[156:157], v[16:17]
	v_fma_f64 v[156:157], v[154:155], s[52:53], v[158:159]
	v_fma_f64 v[162:163], v[154:155], s[56:57], v[158:159]
	v_add_f64 v[20:21], v[156:157], v[20:21]
	v_mul_f64 v[156:157], v[150:151], s[38:39]
	v_add_f64 v[22:23], v[162:163], v[22:23]
	;; [unrolled: 10-line block ×5, first 2 shown]
	v_fma_f64 v[158:159], v[6:7], s[48:49], v[156:157]
	v_fma_f64 v[156:157], v[6:7], s[48:49], -v[156:157]
	v_add_f64 v[50:51], v[158:159], v[50:51]
	v_mul_f64 v[158:159], v[8:9], s[48:49]
	v_add_f64 v[48:49], v[156:157], v[48:49]
	v_fma_f64 v[156:157], v[154:155], s[46:47], v[158:159]
	v_fma_f64 v[162:163], v[154:155], s[50:51], v[158:159]
	v_add_f64 v[52:53], v[156:157], v[52:53]
	v_mul_f64 v[156:157], v[150:151], s[44:45]
	v_mul_f64 v[150:151], v[150:151], s[36:37]
	v_add_f64 v[54:55], v[162:163], v[54:55]
	v_fma_f64 v[158:159], v[6:7], s[42:43], v[156:157]
	v_fma_f64 v[156:157], v[6:7], s[42:43], -v[156:157]
	v_add_f64 v[58:59], v[158:159], v[58:59]
	v_mul_f64 v[158:159], v[8:9], s[42:43]
	v_add_f64 v[56:57], v[156:157], v[56:57]
	v_mul_f64 v[8:9], v[8:9], s[22:23]
	v_fma_f64 v[156:157], v[154:155], s[44:45], v[158:159]
	v_fma_f64 v[162:163], v[154:155], s[40:41], v[158:159]
	v_add_f64 v[60:61], v[156:157], v[60:61]
	v_fma_f64 v[156:157], v[6:7], s[22:23], v[150:151]
	v_fma_f64 v[6:7], v[6:7], s[22:23], -v[150:151]
	v_add_f64 v[150:151], v[188:189], -v[152:153]
	v_add_f64 v[62:63], v[162:163], v[62:63]
	v_add_f64 v[162:163], v[124:125], v[126:127]
	;; [unrolled: 1-line block ×3, first 2 shown]
	v_fma_f64 v[156:157], v[154:155], s[20:21], v[8:9]
	v_add_f64 v[0:1], v[6:7], v[0:1]
	v_fma_f64 v[6:7], v[154:155], s[36:37], v[8:9]
	v_add_f64 v[8:9], v[160:161], v[148:149]
	v_add_f64 v[148:149], v[160:161], -v[148:149]
	v_add_f64 v[160:161], v[124:125], -v[126:127]
	v_add_f64 v[66:67], v[156:157], v[66:67]
	v_add_f64 v[2:3], v[6:7], v[2:3]
	;; [unrolled: 1-line block ×3, first 2 shown]
	v_mul_f64 v[152:153], v[148:149], s[26:27]
	v_fma_f64 v[154:155], v[6:7], s[30:31], v[152:153]
	v_fma_f64 v[152:153], v[6:7], s[30:31], -v[152:153]
	v_add_f64 v[10:11], v[154:155], v[10:11]
	v_mul_f64 v[154:155], v[8:9], s[30:31]
	v_add_f64 v[4:5], v[152:153], v[4:5]
	v_fma_f64 v[152:153], v[150:151], s[26:27], v[154:155]
	v_fma_f64 v[156:157], v[150:151], s[38:39], v[154:155]
	v_add_f64 v[12:13], v[152:153], v[12:13]
	v_mul_f64 v[152:153], v[148:149], s[50:51]
	v_add_f64 v[14:15], v[156:157], v[14:15]
	v_fma_f64 v[154:155], v[6:7], s[48:49], v[152:153]
	v_fma_f64 v[152:153], v[6:7], s[48:49], -v[152:153]
	v_add_f64 v[18:19], v[154:155], v[18:19]
	v_mul_f64 v[154:155], v[8:9], s[48:49]
	v_add_f64 v[16:17], v[152:153], v[16:17]
	v_fma_f64 v[152:153], v[150:151], s[50:51], v[154:155]
	v_fma_f64 v[156:157], v[150:151], s[46:47], v[154:155]
	v_add_f64 v[20:21], v[152:153], v[20:21]
	v_mul_f64 v[152:153], v[148:149], s[36:37]
	v_add_f64 v[22:23], v[156:157], v[22:23]
	;; [unrolled: 10-line block ×5, first 2 shown]
	v_fma_f64 v[154:155], v[6:7], s[8:9], v[152:153]
	v_fma_f64 v[152:153], v[6:7], s[8:9], -v[152:153]
	v_add_f64 v[50:51], v[154:155], v[50:51]
	v_mul_f64 v[154:155], v[8:9], s[8:9]
	v_add_f64 v[48:49], v[152:153], v[48:49]
	v_fma_f64 v[152:153], v[150:151], s[10:11], v[154:155]
	v_fma_f64 v[156:157], v[150:151], s[2:3], v[154:155]
	v_add_f64 v[52:53], v[152:153], v[52:53]
	v_mul_f64 v[152:153], v[148:149], s[24:25]
	v_mul_f64 v[148:149], v[148:149], s[40:41]
	v_add_f64 v[54:55], v[156:157], v[54:55]
	v_fma_f64 v[154:155], v[6:7], s[28:29], v[152:153]
	v_fma_f64 v[152:153], v[6:7], s[28:29], -v[152:153]
	v_add_f64 v[58:59], v[154:155], v[58:59]
	v_mul_f64 v[154:155], v[8:9], s[28:29]
	v_add_f64 v[56:57], v[152:153], v[56:57]
	v_mul_f64 v[8:9], v[8:9], s[42:43]
	v_fma_f64 v[152:153], v[150:151], s[24:25], v[154:155]
	v_fma_f64 v[156:157], v[150:151], s[34:35], v[154:155]
	v_add_f64 v[60:61], v[152:153], v[60:61]
	v_fma_f64 v[152:153], v[6:7], s[42:43], v[148:149]
	v_fma_f64 v[6:7], v[6:7], s[42:43], -v[148:149]
	v_add_f64 v[62:63], v[156:157], v[62:63]
	v_add_f64 v[64:65], v[152:153], v[64:65]
	v_fma_f64 v[152:153], v[150:151], s[44:45], v[8:9]
	v_add_f64 v[0:1], v[6:7], v[0:1]
	v_fma_f64 v[6:7], v[150:151], s[40:41], v[8:9]
	v_add_f64 v[8:9], v[142:143], v[138:139]
	v_add_f64 v[138:139], v[142:143], -v[138:139]
	v_add_f64 v[66:67], v[152:153], v[66:67]
	v_add_f64 v[2:3], v[6:7], v[2:3]
	v_add_f64 v[6:7], v[144:145], v[146:147]
	v_mul_f64 v[142:143], v[138:139], s[40:41]
	v_add_f64 v[144:145], v[144:145], -v[146:147]
	v_fma_f64 v[146:147], v[6:7], s[42:43], v[142:143]
	v_fma_f64 v[142:143], v[6:7], s[42:43], -v[142:143]
	v_add_f64 v[10:11], v[146:147], v[10:11]
	v_mul_f64 v[146:147], v[8:9], s[42:43]
	v_add_f64 v[4:5], v[142:143], v[4:5]
	v_fma_f64 v[142:143], v[144:145], s[40:41], v[146:147]
	v_fma_f64 v[148:149], v[144:145], s[44:45], v[146:147]
	v_add_f64 v[12:13], v[142:143], v[12:13]
	v_mul_f64 v[142:143], v[138:139], s[38:39]
	v_add_f64 v[14:15], v[148:149], v[14:15]
	v_fma_f64 v[146:147], v[6:7], s[30:31], v[142:143]
	v_fma_f64 v[142:143], v[6:7], s[30:31], -v[142:143]
	v_add_f64 v[18:19], v[146:147], v[18:19]
	v_mul_f64 v[146:147], v[8:9], s[30:31]
	v_add_f64 v[16:17], v[142:143], v[16:17]
	v_fma_f64 v[142:143], v[144:145], s[38:39], v[146:147]
	v_fma_f64 v[148:149], v[144:145], s[26:27], v[146:147]
	v_add_f64 v[20:21], v[142:143], v[20:21]
	v_mul_f64 v[142:143], v[138:139], s[24:25]
	v_add_f64 v[22:23], v[148:149], v[22:23]
	v_fma_f64 v[146:147], v[6:7], s[28:29], v[142:143]
	v_fma_f64 v[142:143], v[6:7], s[28:29], -v[142:143]
	v_add_f64 v[26:27], v[146:147], v[26:27]
	v_mul_f64 v[146:147], v[8:9], s[28:29]
	v_add_f64 v[24:25], v[142:143], v[24:25]
	v_fma_f64 v[142:143], v[144:145], s[24:25], v[146:147]
	v_fma_f64 v[148:149], v[144:145], s[34:35], v[146:147]
	v_add_f64 v[28:29], v[142:143], v[28:29]
	v_mul_f64 v[142:143], v[138:139], s[46:47]
	v_add_f64 v[30:31], v[148:149], v[30:31]
	v_fma_f64 v[146:147], v[6:7], s[48:49], v[142:143]
	v_fma_f64 v[142:143], v[6:7], s[48:49], -v[142:143]
	v_add_f64 v[34:35], v[146:147], v[34:35]
	v_mul_f64 v[146:147], v[8:9], s[48:49]
	v_add_f64 v[32:33], v[142:143], v[32:33]
	v_fma_f64 v[142:143], v[144:145], s[46:47], v[146:147]
	v_fma_f64 v[148:149], v[144:145], s[50:51], v[146:147]
	v_add_f64 v[36:37], v[142:143], v[36:37]
	v_mul_f64 v[142:143], v[138:139], s[10:11]
	v_add_f64 v[38:39], v[148:149], v[38:39]
	v_fma_f64 v[146:147], v[6:7], s[8:9], v[142:143]
	v_fma_f64 v[142:143], v[6:7], s[8:9], -v[142:143]
	v_add_f64 v[42:43], v[146:147], v[42:43]
	v_mul_f64 v[146:147], v[8:9], s[8:9]
	v_add_f64 v[40:41], v[142:143], v[40:41]
	v_fma_f64 v[142:143], v[144:145], s[10:11], v[146:147]
	v_fma_f64 v[148:149], v[144:145], s[2:3], v[146:147]
	v_add_f64 v[44:45], v[142:143], v[44:45]
	v_mul_f64 v[142:143], v[138:139], s[20:21]
	v_add_f64 v[46:47], v[148:149], v[46:47]
	v_fma_f64 v[146:147], v[6:7], s[22:23], v[142:143]
	v_fma_f64 v[142:143], v[6:7], s[22:23], -v[142:143]
	v_add_f64 v[50:51], v[146:147], v[50:51]
	v_mul_f64 v[146:147], v[8:9], s[22:23]
	v_add_f64 v[48:49], v[142:143], v[48:49]
	v_fma_f64 v[142:143], v[144:145], s[20:21], v[146:147]
	v_fma_f64 v[148:149], v[144:145], s[36:37], v[146:147]
	v_add_f64 v[52:53], v[142:143], v[52:53]
	v_mul_f64 v[142:143], v[138:139], s[52:53]
	v_mul_f64 v[138:139], v[138:139], s[18:19]
	v_add_f64 v[54:55], v[148:149], v[54:55]
	v_fma_f64 v[146:147], v[6:7], s[54:55], v[142:143]
	v_fma_f64 v[142:143], v[6:7], s[54:55], -v[142:143]
	v_add_f64 v[58:59], v[146:147], v[58:59]
	v_mul_f64 v[146:147], v[8:9], s[54:55]
	v_add_f64 v[56:57], v[142:143], v[56:57]
	v_mul_f64 v[8:9], v[8:9], s[14:15]
	v_fma_f64 v[142:143], v[144:145], s[52:53], v[146:147]
	v_fma_f64 v[148:149], v[144:145], s[56:57], v[146:147]
	v_add_f64 v[60:61], v[142:143], v[60:61]
	v_fma_f64 v[142:143], v[6:7], s[14:15], v[138:139]
	v_fma_f64 v[6:7], v[6:7], s[14:15], -v[138:139]
	v_add_f64 v[62:63], v[148:149], v[62:63]
	v_add_f64 v[64:65], v[142:143], v[64:65]
	v_fma_f64 v[142:143], v[144:145], s[16:17], v[8:9]
	v_add_f64 v[0:1], v[6:7], v[0:1]
	v_fma_f64 v[6:7], v[144:145], s[18:19], v[8:9]
	v_add_f64 v[8:9], v[136:137], v[132:133]
	v_add_f64 v[132:133], v[136:137], -v[132:133]
	v_add_f64 v[66:67], v[142:143], v[66:67]
	v_add_f64 v[2:3], v[6:7], v[2:3]
	;; [unrolled: 1-line block ×3, first 2 shown]
	v_mul_f64 v[136:137], v[132:133], s[46:47]
	v_add_f64 v[134:135], v[140:141], -v[134:135]
	v_fma_f64 v[138:139], v[6:7], s[48:49], v[136:137]
	v_fma_f64 v[136:137], v[6:7], s[48:49], -v[136:137]
	v_add_f64 v[10:11], v[138:139], v[10:11]
	v_mul_f64 v[138:139], v[8:9], s[48:49]
	v_add_f64 v[4:5], v[136:137], v[4:5]
	v_fma_f64 v[136:137], v[134:135], s[46:47], v[138:139]
	v_fma_f64 v[140:141], v[134:135], s[50:51], v[138:139]
	v_add_f64 v[12:13], v[136:137], v[12:13]
	v_mul_f64 v[136:137], v[132:133], s[18:19]
	v_add_f64 v[14:15], v[140:141], v[14:15]
	v_fma_f64 v[138:139], v[6:7], s[14:15], v[136:137]
	v_fma_f64 v[136:137], v[6:7], s[14:15], -v[136:137]
	v_add_f64 v[18:19], v[138:139], v[18:19]
	v_mul_f64 v[138:139], v[8:9], s[14:15]
	v_add_f64 v[16:17], v[136:137], v[16:17]
	v_fma_f64 v[136:137], v[134:135], s[18:19], v[138:139]
	v_fma_f64 v[140:141], v[134:135], s[16:17], v[138:139]
	v_add_f64 v[20:21], v[136:137], v[20:21]
	v_mul_f64 v[136:137], v[132:133], s[2:3]
	v_add_f64 v[22:23], v[140:141], v[22:23]
	;; [unrolled: 10-line block ×5, first 2 shown]
	v_fma_f64 v[138:139], v[6:7], s[54:55], v[136:137]
	v_fma_f64 v[136:137], v[6:7], s[54:55], -v[136:137]
	v_add_f64 v[50:51], v[138:139], v[50:51]
	v_mul_f64 v[138:139], v[8:9], s[54:55]
	v_add_f64 v[48:49], v[136:137], v[48:49]
	v_fma_f64 v[136:137], v[134:135], s[52:53], v[138:139]
	v_fma_f64 v[140:141], v[134:135], s[56:57], v[138:139]
	v_add_f64 v[52:53], v[136:137], v[52:53]
	v_mul_f64 v[136:137], v[132:133], s[36:37]
	v_mul_f64 v[132:133], v[132:133], s[26:27]
	v_add_f64 v[54:55], v[140:141], v[54:55]
	v_fma_f64 v[138:139], v[6:7], s[22:23], v[136:137]
	v_fma_f64 v[136:137], v[6:7], s[22:23], -v[136:137]
	v_add_f64 v[58:59], v[138:139], v[58:59]
	v_mul_f64 v[138:139], v[8:9], s[22:23]
	v_add_f64 v[56:57], v[136:137], v[56:57]
	v_mul_f64 v[8:9], v[8:9], s[30:31]
	v_fma_f64 v[136:137], v[134:135], s[36:37], v[138:139]
	v_fma_f64 v[140:141], v[134:135], s[20:21], v[138:139]
	v_add_f64 v[60:61], v[136:137], v[60:61]
	v_fma_f64 v[136:137], v[6:7], s[30:31], v[132:133]
	v_fma_f64 v[6:7], v[6:7], s[30:31], -v[132:133]
	v_add_f64 v[62:63], v[140:141], v[62:63]
	v_add_f64 v[64:65], v[136:137], v[64:65]
	;; [unrolled: 1-line block ×3, first 2 shown]
	v_fma_f64 v[0:1], v[134:135], s[26:27], v[8:9]
	v_mul_f64 v[6:7], v[160:161], s[52:53]
	v_fma_f64 v[136:137], v[134:135], s[38:39], v[8:9]
	v_mul_f64 v[8:9], v[162:163], s[54:55]
	v_add_f64 v[166:167], v[0:1], v[2:3]
	v_fma_f64 v[0:1], v[168:169], s[54:55], v[6:7]
	v_fma_f64 v[6:7], v[168:169], s[54:55], -v[6:7]
	v_fma_f64 v[2:3], v[170:171], s[56:57], v[8:9]
	v_add_f64 v[66:67], v[136:137], v[66:67]
	v_add_f64 v[0:1], v[0:1], v[10:11]
	;; [unrolled: 1-line block ×3, first 2 shown]
	v_fma_f64 v[4:5], v[170:171], s[52:53], v[8:9]
	v_mul_f64 v[8:9], v[160:161], s[34:35]
	v_mul_f64 v[10:11], v[162:163], s[28:29]
	v_add_f64 v[2:3], v[2:3], v[14:15]
	v_mul_f64 v[14:15], v[162:163], s[48:49]
	v_add_f64 v[126:127], v[4:5], v[12:13]
	v_fma_f64 v[4:5], v[168:169], s[28:29], v[8:9]
	v_fma_f64 v[8:9], v[168:169], s[28:29], -v[8:9]
	v_fma_f64 v[6:7], v[170:171], s[24:25], v[10:11]
	v_mul_f64 v[12:13], v[160:161], s[46:47]
	v_add_f64 v[4:5], v[4:5], v[18:19]
	v_add_f64 v[128:129], v[8:9], v[16:17]
	v_fma_f64 v[8:9], v[170:171], s[34:35], v[10:11]
	v_add_f64 v[6:7], v[6:7], v[22:23]
	v_mul_f64 v[22:23], v[162:163], s[22:23]
	v_fma_f64 v[10:11], v[170:171], s[50:51], v[14:15]
	v_fma_f64 v[14:15], v[170:171], s[46:47], v[14:15]
	v_add_f64 v[130:131], v[8:9], v[20:21]
	v_mul_f64 v[20:21], v[160:161], s[36:37]
	v_fma_f64 v[18:19], v[170:171], s[20:21], v[22:23]
	v_fma_f64 v[8:9], v[168:169], s[48:49], v[12:13]
	v_fma_f64 v[12:13], v[168:169], s[48:49], -v[12:13]
	v_add_f64 v[10:11], v[10:11], v[30:31]
	v_add_f64 v[14:15], v[14:15], v[28:29]
	v_fma_f64 v[16:17], v[168:169], s[22:23], v[20:21]
	v_fma_f64 v[20:21], v[168:169], s[22:23], -v[20:21]
	v_add_f64 v[8:9], v[8:9], v[26:27]
	v_add_f64 v[12:13], v[12:13], v[24:25]
	;; [unrolled: 1-line block ×5, first 2 shown]
	v_fma_f64 v[20:21], v[170:171], s[36:37], v[22:23]
	v_add_f64 v[134:135], v[20:21], v[36:37]
	v_mul_f64 v[20:21], v[160:161], s[40:41]
	v_fma_f64 v[22:23], v[168:169], s[42:43], v[20:21]
	v_fma_f64 v[20:21], v[168:169], s[42:43], -v[20:21]
	v_add_f64 v[136:137], v[22:23], v[42:43]
	v_mul_f64 v[22:23], v[162:163], s[42:43]
	v_add_f64 v[140:141], v[20:21], v[40:41]
	v_fma_f64 v[20:21], v[170:171], s[40:41], v[22:23]
	v_fma_f64 v[24:25], v[170:171], s[44:45], v[22:23]
	v_add_f64 v[142:143], v[20:21], v[44:45]
	v_mul_f64 v[20:21], v[160:161], s[18:19]
	v_add_f64 v[138:139], v[24:25], v[46:47]
	v_fma_f64 v[22:23], v[168:169], s[14:15], v[20:21]
	v_fma_f64 v[20:21], v[168:169], s[14:15], -v[20:21]
	v_add_f64 v[144:145], v[22:23], v[50:51]
	v_mul_f64 v[22:23], v[162:163], s[14:15]
	v_add_f64 v[148:149], v[20:21], v[48:49]
	v_fma_f64 v[20:21], v[170:171], s[18:19], v[22:23]
	v_fma_f64 v[24:25], v[170:171], s[16:17], v[22:23]
	v_add_f64 v[150:151], v[20:21], v[52:53]
	v_mul_f64 v[20:21], v[160:161], s[26:27]
	v_add_f64 v[146:147], v[24:25], v[54:55]
	;; [unrolled: 10-line block ×3, first 2 shown]
	v_fma_f64 v[22:23], v[168:169], s[8:9], v[20:21]
	v_fma_f64 v[20:21], v[168:169], s[8:9], -v[20:21]
	v_add_f64 v[160:161], v[22:23], v[64:65]
	v_mul_f64 v[22:23], v[162:163], s[8:9]
	v_add_f64 v[164:165], v[20:21], v[164:165]
	v_fma_f64 v[24:25], v[170:171], s[2:3], v[22:23]
	v_fma_f64 v[20:21], v[170:171], s[10:11], v[22:23]
	v_add_f64 v[162:163], v[24:25], v[66:67]
	v_add_f64 v[166:167], v[20:21], v[166:167]
	ds_write_b128 v251, v[120:123]
	ds_write_b128 v251, v[0:3] offset:272
	ds_write_b128 v251, v[4:7] offset:544
	;; [unrolled: 1-line block ×16, first 2 shown]
	s_waitcnt lgkmcnt(0)
	; wave barrier
	s_waitcnt lgkmcnt(0)
	ds_read_b128 v[144:147], v249
	ds_read_b128 v[184:187], v249 offset:4624
	ds_read_b128 v[176:179], v249 offset:9248
	;; [unrolled: 1-line block ×14, first 2 shown]
	s_and_saveexec_b64 s[2:3], s[0:1]
	s_cbranch_execz .LBB0_7
; %bb.6:
	ds_read_b128 v[128:131], v249 offset:4080
	ds_read_b128 v[124:127], v249 offset:8704
	;; [unrolled: 1-line block ×3, first 2 shown]
.LBB0_7:
	s_or_b64 exec, exec, s[2:3]
	s_waitcnt lgkmcnt(13)
	v_mul_f64 v[0:1], v[78:79], v[186:187]
	s_waitcnt lgkmcnt(12)
	v_mul_f64 v[4:5], v[82:83], v[178:179]
	;; [unrolled: 2-line block ×4, first 2 shown]
	v_mul_f64 v[2:3], v[78:79], v[184:185]
	v_mul_f64 v[6:7], v[82:83], v[176:177]
	;; [unrolled: 1-line block ×3, first 2 shown]
	s_waitcnt lgkmcnt(6)
	v_mul_f64 v[22:23], v[98:99], v[160:161]
	v_fma_f64 v[14:15], v[76:77], v[184:185], v[0:1]
	v_fma_f64 v[16:17], v[80:81], v[176:177], v[4:5]
	;; [unrolled: 1-line block ×3, first 2 shown]
	v_mul_f64 v[0:1], v[86:87], v[168:169]
	v_mul_f64 v[4:5], v[94:95], v[174:175]
	;; [unrolled: 1-line block ×3, first 2 shown]
	v_fma_f64 v[20:21], v[84:85], v[168:169], v[12:13]
	v_mul_f64 v[12:13], v[98:99], v[162:163]
	v_fma_f64 v[2:3], v[76:77], v[186:187], -v[2:3]
	v_fma_f64 v[6:7], v[80:81], v[178:179], -v[6:7]
	;; [unrolled: 1-line block ×4, first 2 shown]
	s_waitcnt lgkmcnt(4)
	v_mul_f64 v[0:1], v[106:107], v[164:165]
	v_fma_f64 v[28:29], v[92:93], v[172:173], v[4:5]
	v_fma_f64 v[30:31], v[92:93], v[174:175], -v[8:9]
	s_waitcnt lgkmcnt(3)
	v_mul_f64 v[4:5], v[102:103], v[158:159]
	v_fma_f64 v[32:33], v[96:97], v[160:161], v[12:13]
	v_mul_f64 v[8:9], v[102:103], v[156:157]
	v_add_f64 v[12:13], v[14:15], v[16:17]
	v_add_f64 v[46:47], v[2:3], -v[6:7]
	v_fma_f64 v[34:35], v[104:105], v[166:167], -v[0:1]
	s_waitcnt lgkmcnt(1)
	v_mul_f64 v[0:1], v[110:111], v[154:155]
	v_add_f64 v[50:51], v[2:3], v[6:7]
	v_fma_f64 v[36:37], v[100:101], v[156:157], v[4:5]
	v_mul_f64 v[4:5], v[110:111], v[152:153]
	v_fma_f64 v[42:43], v[100:101], v[158:159], -v[8:9]
	v_add_f64 v[8:9], v[144:145], v[14:15]
	v_fma_f64 v[12:13], v[12:13], -0.5, v[144:145]
	s_mov_b32 s2, 0xe8584caa
	s_mov_b32 s3, 0xbfebb67a
	;; [unrolled: 1-line block ×4, first 2 shown]
	v_mul_f64 v[24:25], v[106:107], v[166:167]
	v_fma_f64 v[22:23], v[96:97], v[162:163], -v[22:23]
	v_fma_f64 v[44:45], v[108:109], v[152:153], v[0:1]
	v_fma_f64 v[48:49], v[108:109], v[154:155], -v[4:5]
	v_add_f64 v[0:1], v[8:9], v[16:17]
	v_fma_f64 v[4:5], v[46:47], s[2:3], v[12:13]
	v_add_f64 v[2:3], v[146:147], v[2:3]
	v_add_f64 v[52:53], v[18:19], v[20:21]
	v_fma_f64 v[50:51], v[50:51], -0.5, v[146:147]
	v_add_f64 v[14:15], v[14:15], -v[16:17]
	v_fma_f64 v[8:9], v[46:47], s[8:9], v[12:13]
	v_add_f64 v[12:13], v[140:141], v[18:19]
	v_add_f64 v[16:17], v[10:11], v[26:27]
	;; [unrolled: 1-line block ×3, first 2 shown]
	v_fma_f64 v[24:25], v[104:105], v[164:165], v[24:25]
	s_waitcnt lgkmcnt(0)
	v_mul_f64 v[38:39], v[114:115], v[150:151]
	v_mul_f64 v[40:41], v[114:115], v[148:149]
	v_add_f64 v[2:3], v[2:3], v[6:7]
	v_fma_f64 v[46:47], v[52:53], -0.5, v[140:141]
	v_add_f64 v[52:53], v[10:11], -v[26:27]
	v_fma_f64 v[6:7], v[14:15], s[8:9], v[50:51]
	v_fma_f64 v[10:11], v[14:15], s[2:3], v[50:51]
	v_add_f64 v[12:13], v[12:13], v[20:21]
	v_fma_f64 v[56:57], v[16:17], -0.5, v[142:143]
	v_add_f64 v[20:21], v[18:19], -v[20:21]
	v_add_f64 v[14:15], v[54:55], v[26:27]
	v_add_f64 v[26:27], v[30:31], v[22:23]
	v_fma_f64 v[38:39], v[112:113], v[148:149], v[38:39]
	v_fma_f64 v[40:41], v[112:113], v[150:151], -v[40:41]
	v_add_f64 v[50:51], v[28:29], v[32:33]
	v_fma_f64 v[16:17], v[52:53], s[2:3], v[46:47]
	v_fma_f64 v[76:77], v[52:53], s[8:9], v[46:47]
	v_add_f64 v[46:47], v[136:137], v[28:29]
	v_fma_f64 v[18:19], v[20:21], s[8:9], v[56:57]
	v_add_f64 v[54:55], v[24:25], v[36:37]
	;; [unrolled: 2-line block ×3, first 2 shown]
	v_fma_f64 v[26:27], v[26:27], -0.5, v[138:139]
	v_add_f64 v[28:29], v[28:29], -v[32:33]
	v_add_f64 v[52:53], v[30:31], -v[22:23]
	v_add_f64 v[80:81], v[46:47], v[32:33]
	v_add_f64 v[30:31], v[120:121], v[24:25]
	v_fma_f64 v[32:33], v[54:55], -0.5, v[120:121]
	v_add_f64 v[46:47], v[34:35], -v[42:43]
	v_add_f64 v[82:83], v[20:21], v[22:23]
	v_add_f64 v[20:21], v[34:35], v[42:43]
	v_fma_f64 v[86:87], v[28:29], s[8:9], v[26:27]
	v_fma_f64 v[90:91], v[28:29], s[2:3], v[26:27]
	v_add_f64 v[22:23], v[44:45], v[38:39]
	v_add_f64 v[26:27], v[48:49], v[40:41]
	v_fma_f64 v[50:51], v[50:51], -0.5, v[136:137]
	v_add_f64 v[92:93], v[30:31], v[36:37]
	v_fma_f64 v[96:97], v[46:47], s[2:3], v[32:33]
	v_fma_f64 v[100:101], v[46:47], s[8:9], v[32:33]
	v_add_f64 v[28:29], v[122:123], v[34:35]
	v_fma_f64 v[20:21], v[20:21], -0.5, v[122:123]
	v_add_f64 v[24:25], v[24:25], -v[36:37]
	v_add_f64 v[30:31], v[132:133], v[44:45]
	v_fma_f64 v[22:23], v[22:23], -0.5, v[132:133]
	v_add_f64 v[32:33], v[48:49], -v[40:41]
	v_add_f64 v[34:35], v[134:135], v[48:49]
	v_fma_f64 v[26:27], v[26:27], -0.5, v[134:135]
	v_add_f64 v[36:37], v[44:45], -v[38:39]
	v_fma_f64 v[84:85], v[52:53], s[2:3], v[50:51]
	v_fma_f64 v[88:89], v[52:53], s[8:9], v[50:51]
	v_add_f64 v[94:95], v[28:29], v[42:43]
	v_fma_f64 v[98:99], v[24:25], s[8:9], v[20:21]
	v_fma_f64 v[102:103], v[24:25], s[2:3], v[20:21]
	v_add_f64 v[104:105], v[30:31], v[38:39]
	;; [unrolled: 3-line block ×3, first 2 shown]
	v_fma_f64 v[110:111], v[36:37], s[8:9], v[26:27]
	v_fma_f64 v[114:115], v[36:37], s[2:3], v[26:27]
	ds_write_b128 v249, v[0:3]
	ds_write_b128 v249, v[4:7] offset:4624
	ds_write_b128 v249, v[8:11] offset:9248
	;; [unrolled: 1-line block ×14, first 2 shown]
	s_and_saveexec_b64 s[10:11], s[0:1]
	s_cbranch_execz .LBB0_9
; %bb.8:
	v_mul_f64 v[0:1], v[70:71], v[124:125]
	v_mul_f64 v[2:3], v[74:75], v[116:117]
	;; [unrolled: 1-line block ×4, first 2 shown]
	v_fma_f64 v[0:1], v[68:69], v[126:127], -v[0:1]
	v_fma_f64 v[2:3], v[72:73], v[118:119], -v[2:3]
	v_fma_f64 v[4:5], v[68:69], v[124:125], v[4:5]
	v_fma_f64 v[6:7], v[72:73], v[116:117], v[6:7]
	v_add_f64 v[14:15], v[130:131], v[0:1]
	v_add_f64 v[8:9], v[0:1], v[2:3]
	v_add_f64 v[16:17], v[0:1], -v[2:3]
	v_add_f64 v[10:11], v[4:5], v[6:7]
	v_add_f64 v[12:13], v[4:5], -v[6:7]
	v_add_f64 v[4:5], v[128:129], v[4:5]
	v_add_f64 v[2:3], v[14:15], v[2:3]
	v_fma_f64 v[8:9], v[8:9], -0.5, v[130:131]
	v_fma_f64 v[18:19], v[10:11], -0.5, v[128:129]
	v_add_f64 v[0:1], v[4:5], v[6:7]
	v_fma_f64 v[6:7], v[12:13], s[2:3], v[8:9]
	v_fma_f64 v[10:11], v[12:13], s[8:9], v[8:9]
	;; [unrolled: 1-line block ×4, first 2 shown]
	ds_write_b128 v249, v[0:3] offset:4080
	ds_write_b128 v249, v[8:11] offset:8704
	;; [unrolled: 1-line block ×3, first 2 shown]
.LBB0_9:
	s_or_b64 exec, exec, s[10:11]
	s_waitcnt lgkmcnt(0)
	; wave barrier
	s_waitcnt lgkmcnt(0)
	ds_read_b128 v[0:3], v249
	ds_read_b128 v[4:7], v249 offset:816
	buffer_load_dword v16, off, s[64:67], 0 offset:80 ; 4-byte Folded Reload
	buffer_load_dword v17, off, s[64:67], 0 offset:84 ; 4-byte Folded Reload
	;; [unrolled: 1-line block ×4, first 2 shown]
	v_mad_u64_u32 v[12:13], s[0:1], s6, v253, 0
	v_mad_u64_u32 v[14:15], s[2:3], s4, v250, 0
	s_mov_b32 s0, 0x8b5e3104
	s_mov_b32 s1, 0x3f52e5b8
	s_waitcnt vmcnt(0) lgkmcnt(1)
	v_mul_f64 v[8:9], v[18:19], v[2:3]
	v_mul_f64 v[10:11], v[18:19], v[0:1]
	buffer_load_dword v18, off, s[64:67], 0 offset:64 ; 4-byte Folded Reload
	buffer_load_dword v19, off, s[64:67], 0 offset:68 ; 4-byte Folded Reload
	;; [unrolled: 1-line block ×4, first 2 shown]
	v_fma_f64 v[0:1], v[16:17], v[0:1], v[8:9]
	v_mad_u64_u32 v[8:9], s[2:3], s7, v253, v[13:14]
	v_mov_b32_e32 v9, v15
	v_fma_f64 v[2:3], v[16:17], v[2:3], -v[10:11]
	v_mad_u64_u32 v[9:10], s[2:3], s5, v250, v[9:10]
	v_mov_b32_e32 v13, v8
	v_mul_f64 v[0:1], v[0:1], s[0:1]
	v_mov_b32_e32 v15, v9
	v_lshlrev_b64 v[8:9], 4, v[12:13]
	v_mov_b32_e32 v16, s13
	v_mul_f64 v[2:3], v[2:3], s[0:1]
	v_add_co_u32_e32 v17, vcc, s12, v8
	v_addc_co_u32_e32 v16, vcc, v16, v9, vcc
	v_lshlrev_b64 v[8:9], 4, v[14:15]
	s_mul_i32 s2, s5, 0x330
	v_add_co_u32_e32 v14, vcc, v17, v8
	v_addc_co_u32_e32 v15, vcc, v16, v9, vcc
	global_store_dwordx4 v[14:15], v[0:3], off
	s_mul_hi_u32 s3, s4, 0x330
	s_add_i32 s2, s3, s2
	s_mul_i32 s3, s4, 0x330
	v_add_co_u32_e32 v14, vcc, s3, v14
	s_waitcnt vmcnt(1) lgkmcnt(0)
	v_mul_f64 v[10:11], v[20:21], v[6:7]
	v_mul_f64 v[12:13], v[20:21], v[4:5]
	v_mov_b32_e32 v20, s2
	v_addc_co_u32_e32 v15, vcc, v15, v20, vcc
	v_fma_f64 v[10:11], v[18:19], v[4:5], v[10:11]
	v_fma_f64 v[12:13], v[18:19], v[6:7], -v[12:13]
	ds_read_b128 v[4:7], v249 offset:1632
	v_mul_f64 v[0:1], v[10:11], s[0:1]
	ds_read_b128 v[8:11], v249 offset:2448
	buffer_load_dword v21, off, s[64:67], 0 offset:48 ; 4-byte Folded Reload
	buffer_load_dword v22, off, s[64:67], 0 offset:52 ; 4-byte Folded Reload
	;; [unrolled: 1-line block ×4, first 2 shown]
	v_mul_f64 v[2:3], v[12:13], s[0:1]
	s_waitcnt vmcnt(0) lgkmcnt(1)
	v_mul_f64 v[16:17], v[23:24], v[6:7]
	v_mul_f64 v[18:19], v[23:24], v[4:5]
	buffer_load_dword v23, off, s[64:67], 0 offset:32 ; 4-byte Folded Reload
	buffer_load_dword v24, off, s[64:67], 0 offset:36 ; 4-byte Folded Reload
	;; [unrolled: 1-line block ×4, first 2 shown]
	v_fma_f64 v[4:5], v[21:22], v[4:5], v[16:17]
	v_fma_f64 v[6:7], v[21:22], v[6:7], -v[18:19]
	global_store_dwordx4 v[14:15], v[0:3], off
	v_mov_b32_e32 v22, s2
	v_add_co_u32_e32 v14, vcc, s3, v14
	v_addc_co_u32_e32 v15, vcc, v15, v22, vcc
	v_mul_f64 v[0:1], v[4:5], s[0:1]
	v_mul_f64 v[2:3], v[6:7], s[0:1]
	ds_read_b128 v[4:7], v249 offset:3264
	s_waitcnt vmcnt(1) lgkmcnt(1)
	v_mul_f64 v[12:13], v[25:26], v[10:11]
	v_mul_f64 v[16:17], v[25:26], v[8:9]
	v_fma_f64 v[12:13], v[23:24], v[8:9], v[12:13]
	v_fma_f64 v[16:17], v[23:24], v[10:11], -v[16:17]
	ds_read_b128 v[8:11], v249 offset:4080
	buffer_load_dword v23, off, s[64:67], 0 offset:16 ; 4-byte Folded Reload
	buffer_load_dword v24, off, s[64:67], 0 offset:20 ; 4-byte Folded Reload
	;; [unrolled: 1-line block ×4, first 2 shown]
	s_waitcnt vmcnt(0) lgkmcnt(1)
	v_mul_f64 v[18:19], v[25:26], v[6:7]
	v_mul_f64 v[20:21], v[25:26], v[4:5]
	global_store_dwordx4 v[14:15], v[0:3], off
	v_add_co_u32_e32 v14, vcc, s3, v14
	v_mul_f64 v[0:1], v[12:13], s[0:1]
	v_mul_f64 v[2:3], v[16:17], s[0:1]
	v_addc_co_u32_e32 v15, vcc, v15, v22, vcc
	v_fma_f64 v[4:5], v[23:24], v[4:5], v[18:19]
	v_fma_f64 v[6:7], v[23:24], v[6:7], -v[20:21]
	buffer_load_dword v18, off, s[64:67], 0 ; 4-byte Folded Reload
	buffer_load_dword v19, off, s[64:67], 0 offset:4 ; 4-byte Folded Reload
	buffer_load_dword v20, off, s[64:67], 0 offset:8 ; 4-byte Folded Reload
	buffer_load_dword v21, off, s[64:67], 0 offset:12 ; 4-byte Folded Reload
	s_waitcnt vmcnt(0) lgkmcnt(0)
	v_mul_f64 v[12:13], v[20:21], v[10:11]
	v_mul_f64 v[16:17], v[20:21], v[8:9]
	global_store_dwordx4 v[14:15], v[0:3], off
	v_add_co_u32_e32 v14, vcc, s3, v14
	v_mul_f64 v[0:1], v[4:5], s[0:1]
	v_mul_f64 v[2:3], v[6:7], s[0:1]
	ds_read_b128 v[4:7], v249 offset:4896
	v_fma_f64 v[12:13], v[18:19], v[8:9], v[12:13]
	v_fma_f64 v[16:17], v[18:19], v[10:11], -v[16:17]
	ds_read_b128 v[8:11], v249 offset:5712
	buffer_load_dword v23, off, s[64:67], 0 offset:96 ; 4-byte Folded Reload
	buffer_load_dword v24, off, s[64:67], 0 offset:100 ; 4-byte Folded Reload
	buffer_load_dword v25, off, s[64:67], 0 offset:104 ; 4-byte Folded Reload
	buffer_load_dword v26, off, s[64:67], 0 offset:108 ; 4-byte Folded Reload
	v_addc_co_u32_e32 v15, vcc, v15, v22, vcc
	global_store_dwordx4 v[14:15], v[0:3], off
	v_add_co_u32_e32 v14, vcc, s3, v14
	v_mul_f64 v[0:1], v[12:13], s[0:1]
	v_mul_f64 v[2:3], v[16:17], s[0:1]
	v_addc_co_u32_e32 v15, vcc, v15, v22, vcc
	s_waitcnt vmcnt(1) lgkmcnt(1)
	v_mul_f64 v[18:19], v[25:26], v[6:7]
	v_mul_f64 v[20:21], v[25:26], v[4:5]
	v_fma_f64 v[4:5], v[23:24], v[4:5], v[18:19]
	v_fma_f64 v[6:7], v[23:24], v[6:7], -v[20:21]
	buffer_load_dword v18, off, s[64:67], 0 offset:112 ; 4-byte Folded Reload
	buffer_load_dword v19, off, s[64:67], 0 offset:116 ; 4-byte Folded Reload
	buffer_load_dword v20, off, s[64:67], 0 offset:120 ; 4-byte Folded Reload
	buffer_load_dword v21, off, s[64:67], 0 offset:124 ; 4-byte Folded Reload
	s_waitcnt vmcnt(0) lgkmcnt(0)
	v_mul_f64 v[12:13], v[20:21], v[10:11]
	v_mul_f64 v[16:17], v[20:21], v[8:9]
	global_store_dwordx4 v[14:15], v[0:3], off
	v_add_co_u32_e32 v14, vcc, s3, v14
	v_mul_f64 v[0:1], v[4:5], s[0:1]
	v_mul_f64 v[2:3], v[6:7], s[0:1]
	ds_read_b128 v[4:7], v249 offset:6528
	v_fma_f64 v[12:13], v[18:19], v[8:9], v[12:13]
	v_fma_f64 v[16:17], v[18:19], v[10:11], -v[16:17]
	ds_read_b128 v[8:11], v249 offset:7344
	buffer_load_dword v23, off, s[64:67], 0 offset:128 ; 4-byte Folded Reload
	buffer_load_dword v24, off, s[64:67], 0 offset:132 ; 4-byte Folded Reload
	buffer_load_dword v25, off, s[64:67], 0 offset:136 ; 4-byte Folded Reload
	buffer_load_dword v26, off, s[64:67], 0 offset:140 ; 4-byte Folded Reload
	v_addc_co_u32_e32 v15, vcc, v15, v22, vcc
	global_store_dwordx4 v[14:15], v[0:3], off
	v_add_co_u32_e32 v14, vcc, s3, v14
	v_mul_f64 v[0:1], v[12:13], s[0:1]
	v_mul_f64 v[2:3], v[16:17], s[0:1]
	v_addc_co_u32_e32 v15, vcc, v15, v22, vcc
	s_waitcnt vmcnt(1) lgkmcnt(1)
	v_mul_f64 v[18:19], v[25:26], v[6:7]
	v_mul_f64 v[20:21], v[25:26], v[4:5]
	v_fma_f64 v[4:5], v[23:24], v[4:5], v[18:19]
	v_fma_f64 v[6:7], v[23:24], v[6:7], -v[20:21]
	buffer_load_dword v18, off, s[64:67], 0 offset:144 ; 4-byte Folded Reload
	;; [unrolled: 30-line block ×4, first 2 shown]
	buffer_load_dword v19, off, s[64:67], 0 offset:212 ; 4-byte Folded Reload
	buffer_load_dword v20, off, s[64:67], 0 offset:216 ; 4-byte Folded Reload
	;; [unrolled: 1-line block ×3, first 2 shown]
	s_waitcnt vmcnt(0) lgkmcnt(0)
	v_mul_f64 v[12:13], v[20:21], v[10:11]
	v_mul_f64 v[16:17], v[20:21], v[8:9]
	global_store_dwordx4 v[14:15], v[0:3], off
	v_add_co_u32_e32 v14, vcc, s3, v14
	v_mul_f64 v[0:1], v[4:5], s[0:1]
	v_mul_f64 v[2:3], v[6:7], s[0:1]
	ds_read_b128 v[4:7], v249 offset:11424
	v_fma_f64 v[12:13], v[18:19], v[8:9], v[12:13]
	v_fma_f64 v[16:17], v[18:19], v[10:11], -v[16:17]
	ds_read_b128 v[8:11], v249 offset:12240
	buffer_load_dword v23, off, s[64:67], 0 offset:240 ; 4-byte Folded Reload
	buffer_load_dword v24, off, s[64:67], 0 offset:244 ; 4-byte Folded Reload
	;; [unrolled: 1-line block ×4, first 2 shown]
	v_addc_co_u32_e32 v15, vcc, v15, v22, vcc
	global_store_dwordx4 v[14:15], v[0:3], off
	v_add_co_u32_e32 v14, vcc, s3, v14
	v_mul_f64 v[0:1], v[12:13], s[0:1]
	v_mul_f64 v[2:3], v[16:17], s[0:1]
	v_addc_co_u32_e32 v15, vcc, v15, v22, vcc
	s_waitcnt vmcnt(1) lgkmcnt(1)
	v_mul_f64 v[18:19], v[25:26], v[6:7]
	v_mul_f64 v[20:21], v[25:26], v[4:5]
	v_fma_f64 v[12:13], v[23:24], v[4:5], v[18:19]
	v_fma_f64 v[16:17], v[23:24], v[6:7], -v[20:21]
	ds_read_b128 v[4:7], v249 offset:13056
	buffer_load_dword v26, off, s[64:67], 0 offset:224 ; 4-byte Folded Reload
	buffer_load_dword v27, off, s[64:67], 0 offset:228 ; 4-byte Folded Reload
	;; [unrolled: 1-line block ×4, first 2 shown]
	s_waitcnt vmcnt(0) lgkmcnt(1)
	v_mul_f64 v[18:19], v[28:29], v[10:11]
	v_mul_f64 v[20:21], v[28:29], v[8:9]
	buffer_load_dword v28, off, s[64:67], 0 offset:256 ; 4-byte Folded Reload
	buffer_load_dword v29, off, s[64:67], 0 offset:260 ; 4-byte Folded Reload
	;; [unrolled: 1-line block ×4, first 2 shown]
	v_fma_f64 v[8:9], v[26:27], v[8:9], v[18:19]
	global_store_dwordx4 v[14:15], v[0:3], off
	v_fma_f64 v[10:11], v[26:27], v[10:11], -v[20:21]
	v_mul_f64 v[0:1], v[12:13], s[0:1]
	v_mul_f64 v[2:3], v[16:17], s[0:1]
	v_mov_b32_e32 v13, s2
	v_add_co_u32_e32 v12, vcc, s3, v14
	v_addc_co_u32_e32 v13, vcc, v15, v13, vcc
	global_store_dwordx4 v[12:13], v[0:3], off
	s_nop 0
	v_mul_f64 v[0:1], v[8:9], s[0:1]
	v_mul_f64 v[2:3], v[10:11], s[0:1]
	v_mov_b32_e32 v9, s2
	v_add_co_u32_e32 v8, vcc, s3, v12
	v_addc_co_u32_e32 v9, vcc, v13, v9, vcc
	global_store_dwordx4 v[8:9], v[0:3], off
	s_nop 0
	v_mov_b32_e32 v1, s2
	v_add_co_u32_e32 v0, vcc, s3, v8
	v_addc_co_u32_e32 v1, vcc, v9, v1, vcc
	s_waitcnt vmcnt(3) lgkmcnt(0)
	v_mul_f64 v[22:23], v[30:31], v[6:7]
	v_mul_f64 v[24:25], v[30:31], v[4:5]
	v_fma_f64 v[4:5], v[28:29], v[4:5], v[22:23]
	v_fma_f64 v[6:7], v[28:29], v[6:7], -v[24:25]
	v_mul_f64 v[4:5], v[4:5], s[0:1]
	v_mul_f64 v[6:7], v[6:7], s[0:1]
	global_store_dwordx4 v[0:1], v[4:7], off
.LBB0_10:
	s_endpgm
	.section	.rodata,"a",@progbits
	.p2align	6, 0x0
	.amdhsa_kernel bluestein_single_fwd_len867_dim1_dp_op_CI_CI
		.amdhsa_group_segment_fixed_size 13872
		.amdhsa_private_segment_fixed_size 276
		.amdhsa_kernarg_size 104
		.amdhsa_user_sgpr_count 6
		.amdhsa_user_sgpr_private_segment_buffer 1
		.amdhsa_user_sgpr_dispatch_ptr 0
		.amdhsa_user_sgpr_queue_ptr 0
		.amdhsa_user_sgpr_kernarg_segment_ptr 1
		.amdhsa_user_sgpr_dispatch_id 0
		.amdhsa_user_sgpr_flat_scratch_init 0
		.amdhsa_user_sgpr_private_segment_size 0
		.amdhsa_uses_dynamic_stack 0
		.amdhsa_system_sgpr_private_segment_wavefront_offset 1
		.amdhsa_system_sgpr_workgroup_id_x 1
		.amdhsa_system_sgpr_workgroup_id_y 0
		.amdhsa_system_sgpr_workgroup_id_z 0
		.amdhsa_system_sgpr_workgroup_info 0
		.amdhsa_system_vgpr_workitem_id 0
		.amdhsa_next_free_vgpr 256
		.amdhsa_next_free_sgpr 68
		.amdhsa_reserve_vcc 1
		.amdhsa_reserve_flat_scratch 0
		.amdhsa_float_round_mode_32 0
		.amdhsa_float_round_mode_16_64 0
		.amdhsa_float_denorm_mode_32 3
		.amdhsa_float_denorm_mode_16_64 3
		.amdhsa_dx10_clamp 1
		.amdhsa_ieee_mode 1
		.amdhsa_fp16_overflow 0
		.amdhsa_exception_fp_ieee_invalid_op 0
		.amdhsa_exception_fp_denorm_src 0
		.amdhsa_exception_fp_ieee_div_zero 0
		.amdhsa_exception_fp_ieee_overflow 0
		.amdhsa_exception_fp_ieee_underflow 0
		.amdhsa_exception_fp_ieee_inexact 0
		.amdhsa_exception_int_div_zero 0
	.end_amdhsa_kernel
	.text
.Lfunc_end0:
	.size	bluestein_single_fwd_len867_dim1_dp_op_CI_CI, .Lfunc_end0-bluestein_single_fwd_len867_dim1_dp_op_CI_CI
                                        ; -- End function
	.section	.AMDGPU.csdata,"",@progbits
; Kernel info:
; codeLenInByte = 34112
; NumSgprs: 72
; NumVgprs: 256
; ScratchSize: 276
; MemoryBound: 0
; FloatMode: 240
; IeeeMode: 1
; LDSByteSize: 13872 bytes/workgroup (compile time only)
; SGPRBlocks: 8
; VGPRBlocks: 63
; NumSGPRsForWavesPerEU: 72
; NumVGPRsForWavesPerEU: 256
; Occupancy: 1
; WaveLimiterHint : 1
; COMPUTE_PGM_RSRC2:SCRATCH_EN: 1
; COMPUTE_PGM_RSRC2:USER_SGPR: 6
; COMPUTE_PGM_RSRC2:TRAP_HANDLER: 0
; COMPUTE_PGM_RSRC2:TGID_X_EN: 1
; COMPUTE_PGM_RSRC2:TGID_Y_EN: 0
; COMPUTE_PGM_RSRC2:TGID_Z_EN: 0
; COMPUTE_PGM_RSRC2:TIDIG_COMP_CNT: 0
	.type	__hip_cuid_13b9276a8614ac48,@object ; @__hip_cuid_13b9276a8614ac48
	.section	.bss,"aw",@nobits
	.globl	__hip_cuid_13b9276a8614ac48
__hip_cuid_13b9276a8614ac48:
	.byte	0                               ; 0x0
	.size	__hip_cuid_13b9276a8614ac48, 1

	.ident	"AMD clang version 19.0.0git (https://github.com/RadeonOpenCompute/llvm-project roc-6.4.0 25133 c7fe45cf4b819c5991fe208aaa96edf142730f1d)"
	.section	".note.GNU-stack","",@progbits
	.addrsig
	.addrsig_sym __hip_cuid_13b9276a8614ac48
	.amdgpu_metadata
---
amdhsa.kernels:
  - .args:
      - .actual_access:  read_only
        .address_space:  global
        .offset:         0
        .size:           8
        .value_kind:     global_buffer
      - .actual_access:  read_only
        .address_space:  global
        .offset:         8
        .size:           8
        .value_kind:     global_buffer
      - .actual_access:  read_only
        .address_space:  global
        .offset:         16
        .size:           8
        .value_kind:     global_buffer
      - .actual_access:  read_only
        .address_space:  global
        .offset:         24
        .size:           8
        .value_kind:     global_buffer
      - .actual_access:  read_only
        .address_space:  global
        .offset:         32
        .size:           8
        .value_kind:     global_buffer
      - .offset:         40
        .size:           8
        .value_kind:     by_value
      - .address_space:  global
        .offset:         48
        .size:           8
        .value_kind:     global_buffer
      - .address_space:  global
        .offset:         56
        .size:           8
        .value_kind:     global_buffer
      - .address_space:  global
        .offset:         64
        .size:           8
        .value_kind:     global_buffer
      - .address_space:  global
        .offset:         72
        .size:           8
        .value_kind:     global_buffer
      - .offset:         80
        .size:           4
        .value_kind:     by_value
      - .address_space:  global
        .offset:         88
        .size:           8
        .value_kind:     global_buffer
      - .address_space:  global
        .offset:         96
        .size:           8
        .value_kind:     global_buffer
    .group_segment_fixed_size: 13872
    .kernarg_segment_align: 8
    .kernarg_segment_size: 104
    .language:       OpenCL C
    .language_version:
      - 2
      - 0
    .max_flat_workgroup_size: 51
    .name:           bluestein_single_fwd_len867_dim1_dp_op_CI_CI
    .private_segment_fixed_size: 276
    .sgpr_count:     72
    .sgpr_spill_count: 0
    .symbol:         bluestein_single_fwd_len867_dim1_dp_op_CI_CI.kd
    .uniform_work_group_size: 1
    .uses_dynamic_stack: false
    .vgpr_count:     256
    .vgpr_spill_count: 68
    .wavefront_size: 64
amdhsa.target:   amdgcn-amd-amdhsa--gfx906
amdhsa.version:
  - 1
  - 2
...

	.end_amdgpu_metadata
